;; amdgpu-corpus repo=zjin-lcf/HeCBench kind=compiled arch=gfx906 opt=O3
	.amdgcn_target "amdgcn-amd-amdhsa--gfx906"
	.amdhsa_code_object_version 6
	.text
	.protected	_Z9hypterm_1PdS_S_S_S_PKdS1_S1_S1_S1_S1_S1_S1_dddiii ; -- Begin function _Z9hypterm_1PdS_S_S_S_PKdS1_S1_S1_S1_S1_S1_S1_dddiii
	.globl	_Z9hypterm_1PdS_S_S_S_PKdS1_S1_S1_S1_S1_S1_S1_dddiii
	.p2align	8
	.type	_Z9hypterm_1PdS_S_S_S_PKdS1_S1_S1_S1_S1_S1_S1_dddiii,@function
_Z9hypterm_1PdS_S_S_S_PKdS1_S1_S1_S1_S1_S1_S1_dddiii: ; @_Z9hypterm_1PdS_S_S_S_PKdS1_S1_S1_S1_S1_S1_S1_dddiii
; %bb.0:
	s_load_dwordx2 s[0:1], s[4:5], 0x9c
	s_load_dwordx2 s[28:29], s[4:5], 0x84
	s_waitcnt lgkmcnt(0)
	s_lshr_b32 s2, s0, 16
	s_and_b32 s0, s0, 0xffff
	s_mul_i32 s6, s6, s0
	s_and_b32 s1, s1, 0xffff
	s_max_i32 s0, s6, 0
	s_mul_i32 s7, s7, s2
	v_add_u32_e32 v0, s0, v0
	s_max_i32 s0, s7, 0
	s_mul_i32 s8, s8, s1
	v_add_u32_e32 v1, s0, v1
	s_max_i32 s0, s8, 0
	v_add_u32_e32 v2, s0, v2
	v_min3_u32 v3, v0, v1, v2
	v_cmp_lt_u32_e32 vcc, 3, v3
	s_add_i32 s0, s29, -5
	v_max3_i32 v3, v0, v1, v2
	v_cmp_ge_i32_e64 s[0:1], s0, v3
	s_and_b64 s[0:1], s[0:1], vcc
	s_and_saveexec_b64 s[2:3], s[0:1]
	s_cbranch_execz .LBB0_2
; %bb.1:
	s_load_dwordx4 s[0:3], s[4:5], 0x60
	s_load_dwordx4 s[24:27], s[4:5], 0x40
	s_load_dwordx8 s[16:23], s[4:5], 0x0
	s_load_dwordx8 s[8:15], s[4:5], 0x20
	v_mad_u64_u32 v[1:2], s[4:5], v2, s28, v[1:2]
	s_brev_b32 s6, 6
	s_mov_b32 s7, 0x3fa374bc
	v_mad_u64_u32 v[0:1], s[4:5], v1, s29, v[0:1]
	s_mov_b32 s29, 0x3fe99999
	s_mov_b32 s4, 2.0
	v_ashrrev_i32_e32 v1, 31, v0
	v_lshlrev_b64 v[48:49], 3, v[0:1]
	s_waitcnt lgkmcnt(0)
	v_mov_b32_e32 v1, s11
	v_add_co_u32_e32 v0, vcc, s10, v48
	v_addc_co_u32_e32 v1, vcc, v1, v49, vcc
	global_load_dwordx4 v[32:35], v[0:1], off offset:24
	global_load_dwordx4 v[36:39], v[0:1], off offset:8
	global_load_dwordx4 v[44:47], v[0:1], off offset:-16
	global_load_dwordx4 v[40:43], v[0:1], off offset:-32
	s_brev_b32 s10, 5
	s_mov_b32 s11, 0x3fc99999
	s_mov_b32 s28, s10
	;; [unrolled: 1-line block ×3, first 2 shown]
	s_waitcnt vmcnt(1)
	v_add_f64 v[2:3], v[38:39], -v[44:45]
	v_add_f64 v[0:1], v[36:37], -v[46:47]
	v_mul_f64 v[2:3], v[2:3], s[10:11]
	v_fma_f64 v[0:1], v[0:1], s[28:29], -v[2:3]
	s_waitcnt vmcnt(0)
	v_add_f64 v[2:3], v[32:33], -v[42:43]
	v_fma_f64 v[0:1], v[2:3], s[6:7], v[0:1]
	v_add_f64 v[2:3], v[34:35], -v[40:41]
	v_fma_f64 v[0:1], v[2:3], s[4:5], v[0:1]
	v_add_co_u32_e32 v2, vcc, s16, v48
	v_mov_b32_e32 v3, s17
	v_addc_co_u32_e32 v3, vcc, v3, v49, vcc
	v_add_co_u32_e32 v4, vcc, s26, v48
	v_mul_f64 v[0:1], v[0:1], -s[2:3]
	global_store_dwordx2 v[2:3], v[0:1], off
	v_mov_b32_e32 v0, s27
	v_addc_co_u32_e32 v5, vcc, v0, v49, vcc
	global_load_dwordx4 v[0:3], v[4:5], off offset:24
	global_load_dwordx4 v[16:19], v[4:5], off offset:8
	global_load_dwordx4 v[20:23], v[4:5], off offset:-16
	global_load_dwordx4 v[8:11], v[4:5], off offset:-32
	v_add_co_u32_e32 v12, vcc, s0, v48
	s_waitcnt vmcnt(1)
	v_mul_f64 v[4:5], v[46:47], v[22:23]
	v_mul_f64 v[44:45], v[44:45], v[20:21]
	v_fma_f64 v[36:37], v[36:37], v[16:17], -v[4:5]
	v_mov_b32_e32 v4, s1
	v_addc_co_u32_e32 v13, vcc, v4, v49, vcc
	global_load_dwordx4 v[4:7], v[12:13], off offset:24
	global_load_dwordx4 v[24:27], v[12:13], off offset:8
	global_load_dwordx4 v[28:31], v[12:13], off offset:-16
	s_nop 0
	global_load_dwordx4 v[12:15], v[12:13], off offset:-32
	v_fma_f64 v[38:39], v[38:39], v[18:19], -v[44:45]
	s_waitcnt vmcnt(1)
	v_add_f64 v[44:45], v[26:27], -v[28:29]
	v_add_f64 v[46:47], v[24:25], -v[30:31]
	v_add_f64 v[38:39], v[38:39], v[44:45]
	v_add_f64 v[36:37], v[36:37], v[46:47]
	v_mul_f64 v[38:39], v[38:39], s[10:11]
	v_fma_f64 v[36:37], v[36:37], s[28:29], -v[38:39]
	v_mul_f64 v[38:39], v[42:43], v[10:11]
	v_fma_f64 v[32:33], v[32:33], v[0:1], -v[38:39]
	s_waitcnt vmcnt(0)
	v_add_f64 v[38:39], v[4:5], -v[14:15]
	v_add_f64 v[32:33], v[32:33], v[38:39]
	v_fma_f64 v[32:33], v[32:33], s[6:7], v[36:37]
	v_mul_f64 v[36:37], v[40:41], v[8:9]
	v_fma_f64 v[34:35], v[34:35], v[2:3], -v[36:37]
	v_add_f64 v[36:37], v[6:7], -v[12:13]
	v_add_f64 v[34:35], v[34:35], v[36:37]
	v_fma_f64 v[32:33], v[34:35], s[4:5], v[32:33]
	v_add_co_u32_e32 v34, vcc, s18, v48
	v_mov_b32_e32 v35, s19
	v_addc_co_u32_e32 v35, vcc, v35, v49, vcc
	v_mul_f64 v[32:33], v[32:33], -s[2:3]
	global_store_dwordx2 v[34:35], v[32:33], off
	v_add_co_u32_e32 v32, vcc, s12, v48
	v_mov_b32_e32 v33, s13
	v_addc_co_u32_e32 v33, vcc, v33, v49, vcc
	global_load_dwordx4 v[34:37], v[32:33], off offset:24
	global_load_dwordx4 v[38:41], v[32:33], off offset:8
	global_load_dwordx4 v[42:45], v[32:33], off offset:-16
	global_load_dwordx4 v[50:53], v[32:33], off offset:-32
	s_waitcnt vmcnt(1)
	v_mul_f64 v[32:33], v[22:23], v[44:45]
	v_fma_f64 v[32:33], v[16:17], v[38:39], -v[32:33]
	v_mul_f64 v[38:39], v[20:21], v[42:43]
	v_fma_f64 v[38:39], v[18:19], v[40:41], -v[38:39]
	;; [unrolled: 2-line block ×3, first 2 shown]
	s_waitcnt vmcnt(0)
	v_mul_f64 v[38:39], v[10:11], v[52:53]
	v_fma_f64 v[34:35], v[0:1], v[34:35], -v[38:39]
	v_fma_f64 v[32:33], v[34:35], s[6:7], v[32:33]
	v_mul_f64 v[34:35], v[8:9], v[50:51]
	v_fma_f64 v[34:35], v[2:3], v[36:37], -v[34:35]
	v_fma_f64 v[32:33], v[34:35], s[4:5], v[32:33]
	v_add_co_u32_e32 v34, vcc, s20, v48
	v_mov_b32_e32 v35, s21
	v_addc_co_u32_e32 v35, vcc, v35, v49, vcc
	v_add_co_u32_e32 v44, vcc, s14, v48
	v_mul_f64 v[32:33], v[32:33], -s[2:3]
	global_store_dwordx2 v[34:35], v[32:33], off
	v_mov_b32_e32 v32, s15
	v_addc_co_u32_e32 v45, vcc, v32, v49, vcc
	global_load_dwordx4 v[32:35], v[44:45], off offset:24
	global_load_dwordx4 v[36:39], v[44:45], off offset:8
	global_load_dwordx4 v[40:43], v[44:45], off offset:-16
	s_nop 0
	global_load_dwordx4 v[44:47], v[44:45], off offset:-32
	s_waitcnt vmcnt(1)
	v_mul_f64 v[40:41], v[20:21], v[40:41]
	v_mul_f64 v[42:43], v[22:23], v[42:43]
	v_fma_f64 v[38:39], v[18:19], v[38:39], -v[40:41]
	v_fma_f64 v[36:37], v[16:17], v[36:37], -v[42:43]
	v_mul_f64 v[38:39], v[38:39], s[10:11]
	v_fma_f64 v[36:37], v[36:37], s[28:29], -v[38:39]
	s_waitcnt vmcnt(0)
	v_mul_f64 v[38:39], v[10:11], v[46:47]
	v_fma_f64 v[32:33], v[0:1], v[32:33], -v[38:39]
	v_fma_f64 v[32:33], v[32:33], s[6:7], v[36:37]
	v_mul_f64 v[36:37], v[8:9], v[44:45]
	v_fma_f64 v[34:35], v[2:3], v[34:35], -v[36:37]
	v_fma_f64 v[32:33], v[34:35], s[4:5], v[32:33]
	v_add_co_u32_e32 v34, vcc, s22, v48
	v_mov_b32_e32 v35, s23
	v_addc_co_u32_e32 v35, vcc, v35, v49, vcc
	v_add_co_u32_e32 v36, vcc, s24, v48
	v_mul_f64 v[32:33], v[32:33], -s[2:3]
	global_store_dwordx2 v[34:35], v[32:33], off
	v_mov_b32_e32 v32, s25
	v_addc_co_u32_e32 v37, vcc, v32, v49, vcc
	global_load_dwordx4 v[32:35], v[36:37], off offset:24
	global_load_dwordx4 v[40:43], v[36:37], off offset:8
	global_load_dwordx4 v[44:47], v[36:37], off offset:-16
	s_nop 0
	global_load_dwordx4 v[36:39], v[36:37], off offset:-32
	s_waitcnt vmcnt(1)
	v_mul_f64 v[46:47], v[22:23], v[46:47]
	v_mul_f64 v[22:23], v[22:23], v[30:31]
	v_fma_f64 v[40:41], v[16:17], v[40:41], -v[46:47]
	v_fma_f64 v[16:17], v[16:17], v[24:25], -v[22:23]
	v_mul_f64 v[22:23], v[20:21], v[44:45]
	v_mul_f64 v[20:21], v[20:21], v[28:29]
	v_add_f64 v[16:17], v[16:17], v[40:41]
	v_fma_f64 v[22:23], v[18:19], v[42:43], -v[22:23]
	v_fma_f64 v[18:19], v[18:19], v[26:27], -v[20:21]
	v_add_f64 v[18:19], v[18:19], v[22:23]
	v_mul_f64 v[18:19], v[18:19], s[10:11]
	v_fma_f64 v[16:17], v[16:17], s[28:29], -v[18:19]
	s_waitcnt vmcnt(0)
	v_mul_f64 v[18:19], v[10:11], v[38:39]
	v_mul_f64 v[10:11], v[10:11], v[14:15]
	v_fma_f64 v[18:19], v[0:1], v[32:33], -v[18:19]
	v_fma_f64 v[0:1], v[0:1], v[4:5], -v[10:11]
	v_mul_f64 v[4:5], v[8:9], v[36:37]
	v_mul_f64 v[8:9], v[8:9], v[12:13]
	v_add_f64 v[0:1], v[0:1], v[18:19]
	v_fma_f64 v[4:5], v[2:3], v[34:35], -v[4:5]
	v_fma_f64 v[2:3], v[2:3], v[6:7], -v[8:9]
	v_fma_f64 v[0:1], v[0:1], s[6:7], v[16:17]
	v_add_f64 v[2:3], v[2:3], v[4:5]
	v_fma_f64 v[0:1], v[2:3], s[4:5], v[0:1]
	v_add_co_u32_e32 v2, vcc, s8, v48
	v_mov_b32_e32 v3, s9
	v_addc_co_u32_e32 v3, vcc, v3, v49, vcc
	v_mul_f64 v[0:1], v[0:1], -s[2:3]
	global_store_dwordx2 v[2:3], v[0:1], off
.LBB0_2:
	s_endpgm
	.section	.rodata,"a",@progbits
	.p2align	6, 0x0
	.amdhsa_kernel _Z9hypterm_1PdS_S_S_S_PKdS1_S1_S1_S1_S1_S1_S1_dddiii
		.amdhsa_group_segment_fixed_size 0
		.amdhsa_private_segment_fixed_size 0
		.amdhsa_kernarg_size 400
		.amdhsa_user_sgpr_count 6
		.amdhsa_user_sgpr_private_segment_buffer 1
		.amdhsa_user_sgpr_dispatch_ptr 0
		.amdhsa_user_sgpr_queue_ptr 0
		.amdhsa_user_sgpr_kernarg_segment_ptr 1
		.amdhsa_user_sgpr_dispatch_id 0
		.amdhsa_user_sgpr_flat_scratch_init 0
		.amdhsa_user_sgpr_private_segment_size 0
		.amdhsa_uses_dynamic_stack 0
		.amdhsa_system_sgpr_private_segment_wavefront_offset 0
		.amdhsa_system_sgpr_workgroup_id_x 1
		.amdhsa_system_sgpr_workgroup_id_y 1
		.amdhsa_system_sgpr_workgroup_id_z 1
		.amdhsa_system_sgpr_workgroup_info 0
		.amdhsa_system_vgpr_workitem_id 2
		.amdhsa_next_free_vgpr 54
		.amdhsa_next_free_sgpr 30
		.amdhsa_reserve_vcc 1
		.amdhsa_reserve_flat_scratch 0
		.amdhsa_float_round_mode_32 0
		.amdhsa_float_round_mode_16_64 0
		.amdhsa_float_denorm_mode_32 3
		.amdhsa_float_denorm_mode_16_64 3
		.amdhsa_dx10_clamp 1
		.amdhsa_ieee_mode 1
		.amdhsa_fp16_overflow 0
		.amdhsa_exception_fp_ieee_invalid_op 0
		.amdhsa_exception_fp_denorm_src 0
		.amdhsa_exception_fp_ieee_div_zero 0
		.amdhsa_exception_fp_ieee_overflow 0
		.amdhsa_exception_fp_ieee_underflow 0
		.amdhsa_exception_fp_ieee_inexact 0
		.amdhsa_exception_int_div_zero 0
	.end_amdhsa_kernel
	.text
.Lfunc_end0:
	.size	_Z9hypterm_1PdS_S_S_S_PKdS1_S1_S1_S1_S1_S1_S1_dddiii, .Lfunc_end0-_Z9hypterm_1PdS_S_S_S_PKdS1_S1_S1_S1_S1_S1_S1_dddiii
                                        ; -- End function
	.set _Z9hypterm_1PdS_S_S_S_PKdS1_S1_S1_S1_S1_S1_S1_dddiii.num_vgpr, 54
	.set _Z9hypterm_1PdS_S_S_S_PKdS1_S1_S1_S1_S1_S1_S1_dddiii.num_agpr, 0
	.set _Z9hypterm_1PdS_S_S_S_PKdS1_S1_S1_S1_S1_S1_S1_dddiii.numbered_sgpr, 30
	.set _Z9hypterm_1PdS_S_S_S_PKdS1_S1_S1_S1_S1_S1_S1_dddiii.num_named_barrier, 0
	.set _Z9hypterm_1PdS_S_S_S_PKdS1_S1_S1_S1_S1_S1_S1_dddiii.private_seg_size, 0
	.set _Z9hypterm_1PdS_S_S_S_PKdS1_S1_S1_S1_S1_S1_S1_dddiii.uses_vcc, 1
	.set _Z9hypterm_1PdS_S_S_S_PKdS1_S1_S1_S1_S1_S1_S1_dddiii.uses_flat_scratch, 0
	.set _Z9hypterm_1PdS_S_S_S_PKdS1_S1_S1_S1_S1_S1_S1_dddiii.has_dyn_sized_stack, 0
	.set _Z9hypterm_1PdS_S_S_S_PKdS1_S1_S1_S1_S1_S1_S1_dddiii.has_recursion, 0
	.set _Z9hypterm_1PdS_S_S_S_PKdS1_S1_S1_S1_S1_S1_S1_dddiii.has_indirect_call, 0
	.section	.AMDGPU.csdata,"",@progbits
; Kernel info:
; codeLenInByte = 1304
; TotalNumSgprs: 34
; NumVgprs: 54
; ScratchSize: 0
; MemoryBound: 0
; FloatMode: 240
; IeeeMode: 1
; LDSByteSize: 0 bytes/workgroup (compile time only)
; SGPRBlocks: 4
; VGPRBlocks: 13
; NumSGPRsForWavesPerEU: 34
; NumVGPRsForWavesPerEU: 54
; Occupancy: 4
; WaveLimiterHint : 0
; COMPUTE_PGM_RSRC2:SCRATCH_EN: 0
; COMPUTE_PGM_RSRC2:USER_SGPR: 6
; COMPUTE_PGM_RSRC2:TRAP_HANDLER: 0
; COMPUTE_PGM_RSRC2:TGID_X_EN: 1
; COMPUTE_PGM_RSRC2:TGID_Y_EN: 1
; COMPUTE_PGM_RSRC2:TGID_Z_EN: 1
; COMPUTE_PGM_RSRC2:TIDIG_COMP_CNT: 2
	.text
	.protected	_Z9hypterm_2PdS_S_S_S_PKdS1_S1_S1_S1_S1_S1_S1_dddiii ; -- Begin function _Z9hypterm_2PdS_S_S_S_PKdS1_S1_S1_S1_S1_S1_S1_dddiii
	.globl	_Z9hypterm_2PdS_S_S_S_PKdS1_S1_S1_S1_S1_S1_S1_dddiii
	.p2align	8
	.type	_Z9hypterm_2PdS_S_S_S_PKdS1_S1_S1_S1_S1_S1_S1_dddiii,@function
_Z9hypterm_2PdS_S_S_S_PKdS1_S1_S1_S1_S1_S1_S1_dddiii: ; @_Z9hypterm_2PdS_S_S_S_PKdS1_S1_S1_S1_S1_S1_S1_dddiii
; %bb.0:
	s_load_dwordx2 s[0:1], s[4:5], 0x9c
	s_load_dwordx2 s[28:29], s[4:5], 0x84
	s_waitcnt lgkmcnt(0)
	s_lshr_b32 s2, s0, 16
	s_and_b32 s0, s0, 0xffff
	s_mul_i32 s6, s6, s0
	s_and_b32 s1, s1, 0xffff
	s_max_i32 s0, s6, 0
	s_mul_i32 s7, s7, s2
	v_add_u32_e32 v3, s0, v0
	s_max_i32 s0, s7, 0
	s_mul_i32 s8, s8, s1
	v_add_u32_e32 v42, s0, v1
	s_max_i32 s0, s8, 0
	v_add_u32_e32 v0, s0, v2
	v_min3_u32 v1, v3, v42, v0
	v_cmp_lt_u32_e32 vcc, 3, v1
	s_add_i32 s0, s29, -5
	v_max3_i32 v1, v3, v42, v0
	v_cmp_ge_i32_e64 s[0:1], s0, v1
	s_and_b64 s[0:1], s[0:1], vcc
	s_and_saveexec_b64 s[2:3], s[0:1]
	s_cbranch_execz .LBB1_2
; %bb.1:
	v_mul_lo_u32 v2, v0, s28
	s_load_dwordx2 s[6:7], s[4:5], 0x60
	s_load_dwordx4 s[24:27], s[4:5], 0x50
	s_load_dwordx2 s[30:31], s[4:5], 0x40
	s_load_dwordx8 s[16:23], s[4:5], 0x0
	s_load_dwordx8 s[8:15], s[4:5], 0x20
	s_load_dwordx4 s[0:3], s[4:5], 0x70
	s_brev_b32 s36, 5
	s_mov_b32 s37, 0x3fc99999
	v_add_u32_e32 v36, v2, v42
	v_mad_u64_u32 v[0:1], s[4:5], v36, s29, v[3:4]
	s_waitcnt lgkmcnt(0)
	v_mov_b32_e32 v1, s13
	s_mov_b32 s39, 0x3fe99999
	v_add_u32_e32 v4, s29, v0
	v_ashrrev_i32_e32 v5, 31, v4
	v_lshlrev_b64 v[4:5], 3, v[4:5]
	s_mov_b32 s38, s36
	v_add_co_u32_e32 v6, vcc, s12, v4
	v_addc_co_u32_e32 v7, vcc, v1, v5, vcc
	v_add_u32_e32 v1, -1, v36
	global_load_dwordx2 v[20:21], v[6:7], off
	v_mad_u64_u32 v[6:7], s[4:5], v1, s29, v[3:4]
	v_mov_b32_e32 v1, s13
	s_brev_b32 s34, 6
	v_ashrrev_i32_e32 v7, 31, v6
	v_lshlrev_b64 v[6:7], 3, v[6:7]
	s_mov_b32 s35, 0x3fa374bc
	v_add_co_u32_e32 v8, vcc, s12, v6
	v_addc_co_u32_e32 v9, vcc, v1, v7, vcc
	v_add_u32_e32 v1, 2, v36
	global_load_dwordx2 v[24:25], v[8:9], off
	v_mad_u64_u32 v[8:9], s[4:5], v1, s29, v[3:4]
	v_mov_b32_e32 v1, s13
	v_mov_b32_e32 v48, s11
	v_ashrrev_i32_e32 v9, 31, v8
	v_lshlrev_b64 v[8:9], 3, v[8:9]
	v_mov_b32_e32 v50, s25
	v_add_co_u32_e32 v10, vcc, s12, v8
	v_addc_co_u32_e32 v11, vcc, v1, v9, vcc
	v_add_u32_e32 v1, -2, v36
	global_load_dwordx2 v[22:23], v[10:11], off
	v_mad_u64_u32 v[10:11], s[4:5], v1, s29, v[3:4]
	v_mov_b32_e32 v1, s13
	v_mov_b32_e32 v52, s11
	v_ashrrev_i32_e32 v11, 31, v10
	v_lshlrev_b64 v[10:11], 3, v[10:11]
	v_mov_b32_e32 v54, s25
	v_add_co_u32_e32 v14, vcc, s12, v10
	v_addc_co_u32_e32 v15, vcc, v1, v11, vcc
	global_load_dwordx2 v[26:27], v[14:15], off
	v_add_u32_e32 v1, 3, v36
	v_mov_b32_e32 v56, s11
	v_mov_b32_e32 v58, s25
	v_add_u32_e32 v2, s28, v2
	s_waitcnt vmcnt(2)
	v_add_f64 v[12:13], v[20:21], -v[24:25]
	s_waitcnt vmcnt(0)
	v_add_f64 v[14:15], v[22:23], -v[26:27]
	v_mul_f64 v[14:15], v[14:15], s[36:37]
	v_fma_f64 v[16:17], v[12:13], s[38:39], -v[14:15]
	v_mad_u64_u32 v[12:13], s[4:5], v1, s29, v[3:4]
	v_mov_b32_e32 v1, s13
	v_ashrrev_i32_e32 v13, 31, v12
	v_lshlrev_b64 v[12:13], 3, v[12:13]
	v_add_co_u32_e32 v14, vcc, s12, v12
	v_addc_co_u32_e32 v15, vcc, v1, v13, vcc
	v_add_u32_e32 v1, -3, v36
	global_load_dwordx2 v[28:29], v[14:15], off
	v_mad_u64_u32 v[14:15], s[4:5], v1, s29, v[3:4]
	v_mov_b32_e32 v1, s13
	v_ashrrev_i32_e32 v15, 31, v14
	v_lshlrev_b64 v[14:15], 3, v[14:15]
	v_add_co_u32_e32 v18, vcc, s12, v14
	v_addc_co_u32_e32 v19, vcc, v1, v15, vcc
	global_load_dwordx2 v[32:33], v[18:19], off
	v_add_u32_e32 v1, 4, v36
	s_waitcnt vmcnt(0)
	v_add_f64 v[18:19], v[28:29], -v[32:33]
	v_fma_f64 v[34:35], v[18:19], s[34:35], v[16:17]
	v_mad_u64_u32 v[16:17], s[4:5], v1, s29, v[3:4]
	v_mov_b32_e32 v1, s13
	v_ashrrev_i32_e32 v17, 31, v16
	v_lshlrev_b64 v[16:17], 3, v[16:17]
	v_add_co_u32_e32 v18, vcc, s12, v16
	v_addc_co_u32_e32 v19, vcc, v1, v17, vcc
	v_add_u32_e32 v1, -4, v36
	global_load_dwordx2 v[30:31], v[18:19], off
	v_mad_u64_u32 v[18:19], s[4:5], v1, s29, v[3:4]
	v_mov_b32_e32 v1, s13
	s_mov_b32 s4, 2.0
	v_ashrrev_i32_e32 v19, 31, v18
	v_lshlrev_b64 v[18:19], 3, v[18:19]
	s_mov_b32 s5, 0xbf6cac08
	v_add_co_u32_e32 v36, vcc, s12, v18
	v_addc_co_u32_e32 v37, vcc, v1, v19, vcc
	global_load_dwordx2 v[36:37], v[36:37], off
	v_ashrrev_i32_e32 v1, 31, v0
	v_lshlrev_b64 v[0:1], 3, v[0:1]
	s_waitcnt vmcnt(0)
	v_add_f64 v[38:39], v[30:31], -v[36:37]
	v_fma_f64 v[34:35], v[38:39], s[4:5], v[34:35]
	v_add_co_u32_e32 v38, vcc, s16, v0
	v_mov_b32_e32 v39, s17
	v_addc_co_u32_e32 v39, vcc, v39, v1, vcc
	global_load_dwordx2 v[40:41], v[38:39], off
	s_waitcnt vmcnt(0)
	v_fma_f64 v[34:35], -s[0:1], v[34:35], v[40:41]
	v_mov_b32_e32 v41, s11
	global_store_dwordx2 v[38:39], v[34:35], off
	v_add_co_u32_e32 v34, vcc, s10, v4
	v_mov_b32_e32 v35, s11
	v_addc_co_u32_e32 v35, vcc, v35, v5, vcc
	global_load_dwordx2 v[38:39], v[34:35], off
	v_add_co_u32_e32 v34, vcc, s24, v4
	v_mov_b32_e32 v35, s25
	v_addc_co_u32_e32 v35, vcc, v35, v5, vcc
	v_add_co_u32_e32 v40, vcc, s10, v6
	v_addc_co_u32_e32 v41, vcc, v41, v7, vcc
	global_load_dwordx2 v[43:44], v[40:41], off
	v_add_co_u32_e32 v40, vcc, s24, v6
	v_mov_b32_e32 v41, s25
	v_addc_co_u32_e32 v41, vcc, v41, v7, vcc
	global_load_dwordx2 v[40:41], v[40:41], off
	s_waitcnt vmcnt(0)
	v_mul_f64 v[43:44], v[43:44], v[40:41]
	global_load_dwordx2 v[34:35], v[34:35], off
	v_mul_f64 v[24:25], v[24:25], v[40:41]
	s_waitcnt vmcnt(0)
	v_fma_f64 v[43:44], v[38:39], v[34:35], -v[43:44]
	v_add_co_u32_e32 v38, vcc, s10, v8
	v_mov_b32_e32 v39, s11
	v_addc_co_u32_e32 v39, vcc, v39, v9, vcc
	global_load_dwordx2 v[45:46], v[38:39], off
	v_add_co_u32_e32 v38, vcc, s24, v8
	v_mov_b32_e32 v39, s25
	v_addc_co_u32_e32 v39, vcc, v39, v9, vcc
	v_add_co_u32_e32 v47, vcc, s10, v10
	v_addc_co_u32_e32 v48, vcc, v48, v11, vcc
	v_add_co_u32_e32 v49, vcc, s24, v10
	v_addc_co_u32_e32 v50, vcc, v50, v11, vcc
	global_load_dwordx2 v[47:48], v[47:48], off
	v_fma_f64 v[20:21], v[20:21], v[34:35], -v[24:25]
	global_load_dwordx2 v[49:50], v[49:50], off
	v_mov_b32_e32 v25, s7
	global_load_dwordx2 v[38:39], v[38:39], off
	s_waitcnt vmcnt(1)
	v_mul_f64 v[47:48], v[47:48], v[49:50]
	s_waitcnt vmcnt(0)
	v_fma_f64 v[45:46], v[45:46], v[38:39], -v[47:48]
	v_mov_b32_e32 v48, s25
	v_mul_f64 v[45:46], v[45:46], s[36:37]
	v_fma_f64 v[43:44], v[43:44], s[38:39], -v[45:46]
	v_add_co_u32_e32 v45, vcc, s10, v12
	v_mov_b32_e32 v46, s11
	v_addc_co_u32_e32 v46, vcc, v46, v13, vcc
	v_add_co_u32_e32 v47, vcc, s24, v12
	v_addc_co_u32_e32 v48, vcc, v48, v13, vcc
	v_add_co_u32_e32 v51, vcc, s10, v14
	;; [unrolled: 2-line block ×3, first 2 shown]
	v_addc_co_u32_e32 v54, vcc, v54, v15, vcc
	global_load_dwordx2 v[51:52], v[51:52], off
	s_nop 0
	global_load_dwordx2 v[53:54], v[53:54], off
	s_waitcnt vmcnt(0)
	v_mul_f64 v[51:52], v[51:52], v[53:54]
	global_load_dwordx2 v[45:46], v[45:46], off
	s_nop 0
	global_load_dwordx2 v[47:48], v[47:48], off
	s_waitcnt vmcnt(0)
	v_fma_f64 v[45:46], v[45:46], v[47:48], -v[51:52]
	v_mov_b32_e32 v52, s25
	v_fma_f64 v[43:44], v[45:46], s[34:35], v[43:44]
	v_add_co_u32_e32 v45, vcc, s10, v16
	v_mov_b32_e32 v46, s11
	v_addc_co_u32_e32 v46, vcc, v46, v17, vcc
	v_add_co_u32_e32 v51, vcc, s24, v16
	v_addc_co_u32_e32 v52, vcc, v52, v17, vcc
	v_add_co_u32_e32 v55, vcc, s10, v18
	;; [unrolled: 2-line block ×3, first 2 shown]
	v_addc_co_u32_e32 v58, vcc, v58, v19, vcc
	global_load_dwordx2 v[55:56], v[55:56], off
	s_nop 0
	global_load_dwordx2 v[57:58], v[57:58], off
	s_waitcnt vmcnt(0)
	v_mul_f64 v[55:56], v[55:56], v[57:58]
	global_load_dwordx2 v[45:46], v[45:46], off
	s_nop 0
	global_load_dwordx2 v[51:52], v[51:52], off
	s_waitcnt vmcnt(0)
	v_fma_f64 v[45:46], v[45:46], v[51:52], -v[55:56]
	v_fma_f64 v[43:44], v[45:46], s[4:5], v[43:44]
	v_add_co_u32_e32 v45, vcc, s18, v0
	v_mov_b32_e32 v46, s19
	v_addc_co_u32_e32 v46, vcc, v46, v1, vcc
	global_load_dwordx2 v[55:56], v[45:46], off
	v_add_co_u32_e32 v24, vcc, s6, v4
	v_addc_co_u32_e32 v25, vcc, v25, v5, vcc
	global_load_dwordx2 v[24:25], v[24:25], off
	s_waitcnt vmcnt(1)
	v_fma_f64 v[43:44], -s[0:1], v[43:44], v[55:56]
	global_store_dwordx2 v[45:46], v[43:44], off
	v_add_co_u32_e32 v43, vcc, s6, v6
	v_mov_b32_e32 v44, s7
	v_addc_co_u32_e32 v44, vcc, v44, v7, vcc
	global_load_dwordx2 v[43:44], v[43:44], off
	s_waitcnt vmcnt(0)
	v_add_f64 v[24:25], v[24:25], -v[43:44]
	v_add_f64 v[20:21], v[20:21], v[24:25]
	v_mul_f64 v[24:25], v[26:27], v[49:50]
	v_mov_b32_e32 v27, s7
	v_fma_f64 v[22:23], v[22:23], v[38:39], -v[24:25]
	v_add_co_u32_e32 v24, vcc, s6, v8
	v_mov_b32_e32 v25, s7
	v_addc_co_u32_e32 v25, vcc, v25, v9, vcc
	v_add_co_u32_e32 v26, vcc, s6, v10
	v_addc_co_u32_e32 v27, vcc, v27, v11, vcc
	global_load_dwordx2 v[24:25], v[24:25], off
	s_nop 0
	global_load_dwordx2 v[26:27], v[26:27], off
	s_waitcnt vmcnt(0)
	v_add_f64 v[24:25], v[24:25], -v[26:27]
	v_mov_b32_e32 v27, s7
	v_add_f64 v[22:23], v[22:23], v[24:25]
	v_add_co_u32_e32 v24, vcc, s6, v12
	v_mov_b32_e32 v25, s7
	v_addc_co_u32_e32 v25, vcc, v25, v13, vcc
	v_add_co_u32_e32 v26, vcc, s6, v14
	v_addc_co_u32_e32 v27, vcc, v27, v15, vcc
	global_load_dwordx2 v[24:25], v[24:25], off
	v_mul_f64 v[22:23], v[22:23], s[36:37]
	global_load_dwordx2 v[26:27], v[26:27], off
	v_fma_f64 v[20:21], v[20:21], s[38:39], -v[22:23]
	v_mul_f64 v[22:23], v[32:33], v[53:54]
	v_fma_f64 v[22:23], v[28:29], v[47:48], -v[22:23]
	s_waitcnt vmcnt(0)
	v_add_f64 v[24:25], v[24:25], -v[26:27]
	v_mov_b32_e32 v27, s7
	v_add_f64 v[22:23], v[22:23], v[24:25]
	v_add_co_u32_e32 v24, vcc, s6, v16
	v_mov_b32_e32 v25, s7
	v_addc_co_u32_e32 v25, vcc, v25, v17, vcc
	v_add_co_u32_e32 v26, vcc, s6, v18
	v_addc_co_u32_e32 v27, vcc, v27, v19, vcc
	global_load_dwordx2 v[24:25], v[24:25], off
	v_fma_f64 v[20:21], v[22:23], s[34:35], v[20:21]
	global_load_dwordx2 v[26:27], v[26:27], off
	v_mul_f64 v[22:23], v[36:37], v[57:58]
	v_fma_f64 v[22:23], v[30:31], v[51:52], -v[22:23]
	s_waitcnt vmcnt(0)
	v_add_f64 v[24:25], v[24:25], -v[26:27]
	v_add_f64 v[22:23], v[22:23], v[24:25]
	v_fma_f64 v[20:21], v[22:23], s[4:5], v[20:21]
	v_add_co_u32_e32 v22, vcc, s20, v0
	v_mov_b32_e32 v23, s21
	v_addc_co_u32_e32 v23, vcc, v23, v1, vcc
	global_load_dwordx2 v[24:25], v[22:23], off
	v_add_co_u32_e32 v4, vcc, s14, v4
	s_waitcnt vmcnt(0)
	v_fma_f64 v[20:21], -s[0:1], v[20:21], v[24:25]
	global_store_dwordx2 v[22:23], v[20:21], off
	v_mov_b32_e32 v20, s15
	v_addc_co_u32_e32 v5, vcc, v20, v5, vcc
	v_add_co_u32_e32 v6, vcc, s14, v6
	v_addc_co_u32_e32 v7, vcc, v20, v7, vcc
	global_load_dwordx2 v[4:5], v[4:5], off
	s_nop 0
	global_load_dwordx2 v[6:7], v[6:7], off
	s_waitcnt vmcnt(0)
	v_mul_f64 v[6:7], v[40:41], v[6:7]
	v_fma_f64 v[4:5], v[34:35], v[4:5], -v[6:7]
	v_add_co_u32_e32 v6, vcc, s14, v8
	v_mov_b32_e32 v7, s15
	v_addc_co_u32_e32 v7, vcc, v7, v9, vcc
	v_add_co_u32_e32 v8, vcc, s14, v10
	v_mov_b32_e32 v9, s15
	v_addc_co_u32_e32 v9, vcc, v9, v11, vcc
	global_load_dwordx2 v[6:7], v[6:7], off
	s_nop 0
	global_load_dwordx2 v[8:9], v[8:9], off
	s_waitcnt vmcnt(0)
	v_mul_f64 v[8:9], v[49:50], v[8:9]
	v_fma_f64 v[6:7], v[38:39], v[6:7], -v[8:9]
	v_mov_b32_e32 v9, s15
	v_mul_f64 v[6:7], v[6:7], s[36:37]
	v_fma_f64 v[4:5], v[4:5], s[38:39], -v[6:7]
	v_add_co_u32_e32 v6, vcc, s14, v12
	v_mov_b32_e32 v7, s15
	v_addc_co_u32_e32 v7, vcc, v7, v13, vcc
	v_add_co_u32_e32 v8, vcc, s14, v14
	v_addc_co_u32_e32 v9, vcc, v9, v15, vcc
	global_load_dwordx2 v[6:7], v[6:7], off
	v_mov_b32_e32 v13, s31
	global_load_dwordx2 v[8:9], v[8:9], off
	v_mov_b32_e32 v15, s27
	s_waitcnt vmcnt(0)
	v_mul_f64 v[8:9], v[53:54], v[8:9]
	v_fma_f64 v[6:7], v[47:48], v[6:7], -v[8:9]
	v_mov_b32_e32 v9, s15
	v_fma_f64 v[4:5], v[6:7], s[34:35], v[4:5]
	v_add_co_u32_e32 v6, vcc, s14, v16
	v_mov_b32_e32 v7, s15
	v_addc_co_u32_e32 v7, vcc, v7, v17, vcc
	v_add_co_u32_e32 v8, vcc, s14, v18
	v_addc_co_u32_e32 v9, vcc, v9, v19, vcc
	global_load_dwordx2 v[6:7], v[6:7], off
	s_nop 0
	global_load_dwordx2 v[8:9], v[8:9], off
	s_waitcnt vmcnt(0)
	v_mul_f64 v[8:9], v[57:58], v[8:9]
	v_fma_f64 v[6:7], v[51:52], v[6:7], -v[8:9]
	v_fma_f64 v[4:5], v[6:7], s[4:5], v[4:5]
	v_add_co_u32_e32 v6, vcc, s22, v0
	v_mov_b32_e32 v7, s23
	v_addc_co_u32_e32 v7, vcc, v7, v1, vcc
	global_load_dwordx2 v[8:9], v[6:7], off
	s_waitcnt vmcnt(0)
	v_fma_f64 v[4:5], -s[0:1], v[4:5], v[8:9]
	v_mov_b32_e32 v9, s27
	global_store_dwordx2 v[6:7], v[4:5], off
	v_add_u32_e32 v4, v2, v42
	v_mad_u64_u32 v[4:5], s[0:1], v4, s29, v[3:4]
	s_lshl_b32 s0, s28, 1
	v_subrev_u32_e32 v2, s0, v2
	v_ashrrev_i32_e32 v5, 31, v4
	v_lshlrev_b64 v[4:5], 3, v[4:5]
	v_add_u32_e32 v10, v2, v42
	v_mad_u64_u32 v[10:11], s[0:1], v10, s29, v[3:4]
	v_add_co_u32_e32 v6, vcc, s30, v4
	v_mov_b32_e32 v7, s31
	v_addc_co_u32_e32 v7, vcc, v7, v5, vcc
	v_ashrrev_i32_e32 v11, 31, v10
	v_add_co_u32_e32 v8, vcc, s26, v4
	v_lshlrev_b64 v[10:11], 3, v[10:11]
	v_addc_co_u32_e32 v9, vcc, v9, v5, vcc
	v_add_co_u32_e32 v12, vcc, s30, v10
	v_addc_co_u32_e32 v13, vcc, v13, v11, vcc
	v_add_co_u32_e32 v14, vcc, s26, v10
	v_addc_co_u32_e32 v15, vcc, v15, v11, vcc
	global_load_dwordx2 v[12:13], v[12:13], off
	v_add_co_u32_e32 v4, vcc, s6, v4
	global_load_dwordx2 v[14:15], v[14:15], off
	s_waitcnt vmcnt(0)
	v_mul_f64 v[12:13], v[12:13], v[14:15]
	global_load_dwordx2 v[6:7], v[6:7], off
	s_nop 0
	global_load_dwordx2 v[8:9], v[8:9], off
	s_waitcnt vmcnt(0)
	v_fma_f64 v[6:7], v[6:7], v[8:9], -v[12:13]
	v_mov_b32_e32 v12, s7
	v_addc_co_u32_e32 v5, vcc, v12, v5, vcc
	v_add_co_u32_e32 v10, vcc, s6, v10
	v_addc_co_u32_e32 v11, vcc, v12, v11, vcc
	global_load_dwordx2 v[4:5], v[4:5], off
	s_nop 0
	global_load_dwordx2 v[10:11], v[10:11], off
	s_waitcnt vmcnt(0)
	v_mul_f64 v[10:11], v[14:15], v[10:11]
	v_fma_f64 v[4:5], v[8:9], v[4:5], -v[10:11]
	v_add_f64 v[4:5], v[6:7], v[4:5]
	v_mad_u64_u32 v[6:7], s[0:1], s28, 3, v[2:3]
	v_add_u32_e32 v2, v6, v42
	v_mad_u64_u32 v[7:8], s[0:1], v2, s29, v[3:4]
	v_mov_b32_e32 v2, s31
	s_lshl_b32 s0, s28, 2
	v_ashrrev_i32_e32 v8, 31, v7
	v_lshlrev_b64 v[7:8], 3, v[7:8]
	v_add_co_u32_e32 v9, vcc, s30, v7
	v_addc_co_u32_e32 v10, vcc, v2, v8, vcc
	v_add_co_u32_e32 v11, vcc, s26, v7
	v_mov_b32_e32 v2, s27
	v_addc_co_u32_e32 v12, vcc, v2, v8, vcc
	v_subrev_u32_e32 v2, s0, v6
	v_add_u32_e32 v6, v2, v42
	v_mad_u64_u32 v[13:14], s[0:1], v6, s29, v[3:4]
	v_mov_b32_e32 v6, s31
	global_load_dwordx2 v[9:10], v[9:10], off
	v_ashrrev_i32_e32 v14, 31, v13
	v_lshlrev_b64 v[13:14], 3, v[13:14]
	global_load_dwordx2 v[11:12], v[11:12], off
	v_add_co_u32_e32 v15, vcc, s30, v13
	v_addc_co_u32_e32 v16, vcc, v6, v14, vcc
	v_add_co_u32_e32 v17, vcc, s26, v13
	v_mov_b32_e32 v6, s27
	v_addc_co_u32_e32 v18, vcc, v6, v14, vcc
	v_add_co_u32_e32 v6, vcc, s6, v7
	v_mov_b32_e32 v7, s7
	;; [unrolled: 3-line block ×3, first 2 shown]
	v_addc_co_u32_e32 v14, vcc, v8, v14, vcc
	global_load_dwordx2 v[15:16], v[15:16], off
	s_nop 0
	global_load_dwordx2 v[17:18], v[17:18], off
	s_waitcnt vmcnt(0)
	v_mul_f64 v[15:16], v[15:16], v[17:18]
	global_load_dwordx2 v[13:14], v[13:14], off
	v_fma_f64 v[9:10], v[9:10], v[11:12], -v[15:16]
	global_load_dwordx2 v[6:7], v[6:7], off
	s_waitcnt vmcnt(1)
	v_mul_f64 v[13:14], v[17:18], v[13:14]
	s_waitcnt vmcnt(0)
	v_fma_f64 v[6:7], v[11:12], v[6:7], -v[13:14]
	v_add_f64 v[6:7], v[9:10], v[6:7]
	v_mul_f64 v[6:7], v[6:7], s[36:37]
	v_fma_f64 v[4:5], v[4:5], s[38:39], -v[6:7]
	v_mad_u64_u32 v[6:7], s[0:1], s28, 5, v[2:3]
	v_add_u32_e32 v2, v6, v42
	v_mad_u64_u32 v[7:8], s[0:1], v2, s29, v[3:4]
	v_mov_b32_e32 v2, s31
	v_ashrrev_i32_e32 v8, 31, v7
	v_lshlrev_b64 v[8:9], 3, v[7:8]
	v_mad_u64_u32 v[6:7], s[0:1], s28, -6, v[6:7]
	v_add_co_u32_e32 v10, vcc, s30, v8
	v_addc_co_u32_e32 v11, vcc, v2, v9, vcc
	v_add_co_u32_e32 v12, vcc, s26, v8
	v_mov_b32_e32 v2, s27
	v_addc_co_u32_e32 v13, vcc, v2, v9, vcc
	v_add_u32_e32 v2, v6, v42
	v_mad_u64_u32 v[14:15], s[0:1], v2, s29, v[3:4]
	v_mov_b32_e32 v2, s31
	global_load_dwordx2 v[10:11], v[10:11], off
	v_ashrrev_i32_e32 v15, 31, v14
	v_lshlrev_b64 v[14:15], 3, v[14:15]
	global_load_dwordx2 v[12:13], v[12:13], off
	v_add_co_u32_e32 v16, vcc, s30, v14
	v_addc_co_u32_e32 v17, vcc, v2, v15, vcc
	v_add_co_u32_e32 v18, vcc, s26, v14
	v_mov_b32_e32 v2, s27
	v_addc_co_u32_e32 v19, vcc, v2, v15, vcc
	v_add_co_u32_e32 v7, vcc, s6, v8
	v_mov_b32_e32 v2, s7
	v_addc_co_u32_e32 v8, vcc, v2, v9, vcc
	v_add_co_u32_e32 v14, vcc, s6, v14
	v_addc_co_u32_e32 v15, vcc, v2, v15, vcc
	global_load_dwordx2 v[16:17], v[16:17], off
	s_nop 0
	global_load_dwordx2 v[18:19], v[18:19], off
	s_waitcnt vmcnt(0)
	v_mul_f64 v[16:17], v[16:17], v[18:19]
	global_load_dwordx2 v[14:15], v[14:15], off
	v_fma_f64 v[10:11], v[10:11], v[12:13], -v[16:17]
	global_load_dwordx2 v[7:8], v[7:8], off
	s_waitcnt vmcnt(1)
	v_mul_f64 v[14:15], v[18:19], v[14:15]
	s_waitcnt vmcnt(0)
	v_fma_f64 v[7:8], v[12:13], v[7:8], -v[14:15]
	v_add_f64 v[7:8], v[10:11], v[7:8]
	v_fma_f64 v[4:5], v[7:8], s[34:35], v[4:5]
	v_mad_u64_u32 v[8:9], s[0:1], s28, 7, v[6:7]
	v_mov_b32_e32 v9, s27
	v_add_u32_e32 v2, v8, v42
	v_mad_u64_u32 v[6:7], s[0:1], v2, s29, v[3:4]
	v_mov_b32_e32 v2, s31
	s_lshl_b32 s0, s28, 3
	v_ashrrev_i32_e32 v7, 31, v6
	v_lshlrev_b64 v[10:11], 3, v[6:7]
	v_add_co_u32_e32 v6, vcc, s30, v10
	v_addc_co_u32_e32 v7, vcc, v2, v11, vcc
	global_load_dwordx2 v[12:13], v[6:7], off
	v_add_co_u32_e32 v6, vcc, s26, v10
	v_mov_b32_e32 v2, s27
	v_addc_co_u32_e32 v7, vcc, v2, v11, vcc
	v_subrev_u32_e32 v2, s0, v8
	v_add_u32_e32 v2, v2, v42
	v_mad_u64_u32 v[2:3], s[0:1], v2, s29, v[3:4]
	global_load_dwordx2 v[6:7], v[6:7], off
	v_ashrrev_i32_e32 v3, 31, v2
	v_lshlrev_b64 v[14:15], 3, v[2:3]
	v_mov_b32_e32 v3, s31
	v_add_co_u32_e32 v2, vcc, s30, v14
	v_addc_co_u32_e32 v3, vcc, v3, v15, vcc
	v_add_co_u32_e32 v8, vcc, s26, v14
	v_addc_co_u32_e32 v9, vcc, v9, v15, vcc
	global_load_dwordx2 v[2:3], v[2:3], off
	v_add_co_u32_e32 v10, vcc, s6, v10
	global_load_dwordx2 v[8:9], v[8:9], off
	s_waitcnt vmcnt(0)
	v_mul_f64 v[2:3], v[2:3], v[8:9]
	v_fma_f64 v[2:3], v[12:13], v[6:7], -v[2:3]
	v_mov_b32_e32 v12, s7
	v_addc_co_u32_e32 v11, vcc, v12, v11, vcc
	v_add_co_u32_e32 v12, vcc, s6, v14
	v_mov_b32_e32 v13, s7
	v_addc_co_u32_e32 v13, vcc, v13, v15, vcc
	global_load_dwordx2 v[10:11], v[10:11], off
	v_add_co_u32_e32 v0, vcc, s8, v0
	global_load_dwordx2 v[12:13], v[12:13], off
	s_waitcnt vmcnt(0)
	v_mul_f64 v[8:9], v[8:9], v[12:13]
	v_fma_f64 v[6:7], v[6:7], v[10:11], -v[8:9]
	v_add_f64 v[2:3], v[2:3], v[6:7]
	v_fma_f64 v[2:3], v[2:3], s[4:5], v[4:5]
	v_mov_b32_e32 v4, s9
	v_addc_co_u32_e32 v1, vcc, v4, v1, vcc
	global_load_dwordx2 v[4:5], v[0:1], off
	s_waitcnt vmcnt(0)
	v_fma_f64 v[2:3], -s[2:3], v[2:3], v[4:5]
	global_store_dwordx2 v[0:1], v[2:3], off
.LBB1_2:
	s_endpgm
	.section	.rodata,"a",@progbits
	.p2align	6, 0x0
	.amdhsa_kernel _Z9hypterm_2PdS_S_S_S_PKdS1_S1_S1_S1_S1_S1_S1_dddiii
		.amdhsa_group_segment_fixed_size 0
		.amdhsa_private_segment_fixed_size 0
		.amdhsa_kernarg_size 400
		.amdhsa_user_sgpr_count 6
		.amdhsa_user_sgpr_private_segment_buffer 1
		.amdhsa_user_sgpr_dispatch_ptr 0
		.amdhsa_user_sgpr_queue_ptr 0
		.amdhsa_user_sgpr_kernarg_segment_ptr 1
		.amdhsa_user_sgpr_dispatch_id 0
		.amdhsa_user_sgpr_flat_scratch_init 0
		.amdhsa_user_sgpr_private_segment_size 0
		.amdhsa_uses_dynamic_stack 0
		.amdhsa_system_sgpr_private_segment_wavefront_offset 0
		.amdhsa_system_sgpr_workgroup_id_x 1
		.amdhsa_system_sgpr_workgroup_id_y 1
		.amdhsa_system_sgpr_workgroup_id_z 1
		.amdhsa_system_sgpr_workgroup_info 0
		.amdhsa_system_vgpr_workitem_id 2
		.amdhsa_next_free_vgpr 59
		.amdhsa_next_free_sgpr 40
		.amdhsa_reserve_vcc 1
		.amdhsa_reserve_flat_scratch 0
		.amdhsa_float_round_mode_32 0
		.amdhsa_float_round_mode_16_64 0
		.amdhsa_float_denorm_mode_32 3
		.amdhsa_float_denorm_mode_16_64 3
		.amdhsa_dx10_clamp 1
		.amdhsa_ieee_mode 1
		.amdhsa_fp16_overflow 0
		.amdhsa_exception_fp_ieee_invalid_op 0
		.amdhsa_exception_fp_denorm_src 0
		.amdhsa_exception_fp_ieee_div_zero 0
		.amdhsa_exception_fp_ieee_overflow 0
		.amdhsa_exception_fp_ieee_underflow 0
		.amdhsa_exception_fp_ieee_inexact 0
		.amdhsa_exception_int_div_zero 0
	.end_amdhsa_kernel
	.text
.Lfunc_end1:
	.size	_Z9hypterm_2PdS_S_S_S_PKdS1_S1_S1_S1_S1_S1_S1_dddiii, .Lfunc_end1-_Z9hypterm_2PdS_S_S_S_PKdS1_S1_S1_S1_S1_S1_S1_dddiii
                                        ; -- End function
	.set _Z9hypterm_2PdS_S_S_S_PKdS1_S1_S1_S1_S1_S1_S1_dddiii.num_vgpr, 59
	.set _Z9hypterm_2PdS_S_S_S_PKdS1_S1_S1_S1_S1_S1_S1_dddiii.num_agpr, 0
	.set _Z9hypterm_2PdS_S_S_S_PKdS1_S1_S1_S1_S1_S1_S1_dddiii.numbered_sgpr, 40
	.set _Z9hypterm_2PdS_S_S_S_PKdS1_S1_S1_S1_S1_S1_S1_dddiii.num_named_barrier, 0
	.set _Z9hypterm_2PdS_S_S_S_PKdS1_S1_S1_S1_S1_S1_S1_dddiii.private_seg_size, 0
	.set _Z9hypterm_2PdS_S_S_S_PKdS1_S1_S1_S1_S1_S1_S1_dddiii.uses_vcc, 1
	.set _Z9hypterm_2PdS_S_S_S_PKdS1_S1_S1_S1_S1_S1_S1_dddiii.uses_flat_scratch, 0
	.set _Z9hypterm_2PdS_S_S_S_PKdS1_S1_S1_S1_S1_S1_S1_dddiii.has_dyn_sized_stack, 0
	.set _Z9hypterm_2PdS_S_S_S_PKdS1_S1_S1_S1_S1_S1_S1_dddiii.has_recursion, 0
	.set _Z9hypterm_2PdS_S_S_S_PKdS1_S1_S1_S1_S1_S1_S1_dddiii.has_indirect_call, 0
	.section	.AMDGPU.csdata,"",@progbits
; Kernel info:
; codeLenInByte = 2940
; TotalNumSgprs: 44
; NumVgprs: 59
; ScratchSize: 0
; MemoryBound: 0
; FloatMode: 240
; IeeeMode: 1
; LDSByteSize: 0 bytes/workgroup (compile time only)
; SGPRBlocks: 5
; VGPRBlocks: 14
; NumSGPRsForWavesPerEU: 44
; NumVGPRsForWavesPerEU: 59
; Occupancy: 4
; WaveLimiterHint : 0
; COMPUTE_PGM_RSRC2:SCRATCH_EN: 0
; COMPUTE_PGM_RSRC2:USER_SGPR: 6
; COMPUTE_PGM_RSRC2:TRAP_HANDLER: 0
; COMPUTE_PGM_RSRC2:TGID_X_EN: 1
; COMPUTE_PGM_RSRC2:TGID_Y_EN: 1
; COMPUTE_PGM_RSRC2:TGID_Z_EN: 1
; COMPUTE_PGM_RSRC2:TIDIG_COMP_CNT: 2
	.text
	.protected	_Z9hypterm_3PdS_S_S_S_PKdS1_S1_S1_S1_S1_S1_S1_dddiii ; -- Begin function _Z9hypterm_3PdS_S_S_S_PKdS1_S1_S1_S1_S1_S1_S1_dddiii
	.globl	_Z9hypterm_3PdS_S_S_S_PKdS1_S1_S1_S1_S1_S1_S1_dddiii
	.p2align	8
	.type	_Z9hypterm_3PdS_S_S_S_PKdS1_S1_S1_S1_S1_S1_S1_dddiii,@function
_Z9hypterm_3PdS_S_S_S_PKdS1_S1_S1_S1_S1_S1_S1_dddiii: ; @_Z9hypterm_3PdS_S_S_S_PKdS1_S1_S1_S1_S1_S1_S1_dddiii
; %bb.0:
	s_load_dwordx2 s[0:1], s[4:5], 0x9c
	s_load_dwordx2 s[28:29], s[4:5], 0x84
	s_waitcnt lgkmcnt(0)
	s_lshr_b32 s2, s0, 16
	s_and_b32 s0, s0, 0xffff
	s_mul_i32 s6, s6, s0
	s_and_b32 s1, s1, 0xffff
	s_max_i32 s0, s6, 0
	s_mul_i32 s7, s7, s2
	v_add_u32_e32 v3, s0, v0
	s_max_i32 s0, s7, 0
	s_mul_i32 s8, s8, s1
	v_add_u32_e32 v0, s0, v1
	s_max_i32 s0, s8, 0
	v_add_u32_e32 v1, s0, v2
	v_min3_u32 v2, v3, v0, v1
	v_cmp_lt_u32_e32 vcc, 3, v2
	s_add_i32 s0, s29, -5
	v_max3_i32 v2, v3, v0, v1
	v_cmp_ge_i32_e64 s[0:1], s0, v2
	s_and_b64 s[0:1], s[0:1], vcc
	s_and_saveexec_b64 s[2:3], s[0:1]
	s_cbranch_execz .LBB2_2
; %bb.1:
	v_mul_lo_u32 v1, v1, s28
	s_load_dwordx2 s[6:7], s[4:5], 0x60
	s_load_dwordx4 s[24:27], s[4:5], 0x50
	s_load_dwordx2 s[30:31], s[4:5], 0x40
	s_load_dwordx8 s[16:23], s[4:5], 0x0
	s_load_dwordx8 s[8:15], s[4:5], 0x20
	s_load_dwordx4 s[0:3], s[4:5], 0x70
	s_brev_b32 s36, 5
	s_mov_b32 s37, 0x3fc99999
	v_add_u32_e32 v2, s28, v1
	v_add_u32_e32 v4, v2, v0
	v_mad_u64_u32 v[4:5], s[4:5], v4, s29, v[3:4]
	s_waitcnt lgkmcnt(0)
	v_mov_b32_e32 v7, s15
	s_lshl_b32 s4, s28, 1
	v_ashrrev_i32_e32 v5, 31, v4
	v_lshlrev_b64 v[4:5], 3, v[4:5]
	v_subrev_u32_e32 v2, s4, v2
	v_add_co_u32_e32 v6, vcc, s14, v4
	v_addc_co_u32_e32 v7, vcc, v7, v5, vcc
	global_load_dwordx2 v[8:9], v[6:7], off
	v_add_u32_e32 v6, v2, v0
	v_mad_u64_u32 v[6:7], s[4:5], v6, s29, v[3:4]
	v_mad_u64_u32 v[12:13], s[4:5], s28, 3, v[2:3]
	v_ashrrev_i32_e32 v7, 31, v6
	v_lshlrev_b64 v[6:7], 3, v[6:7]
	v_mov_b32_e32 v11, s15
	v_add_co_u32_e32 v10, vcc, s14, v6
	v_addc_co_u32_e32 v11, vcc, v11, v7, vcc
	v_add_u32_e32 v2, v12, v0
	global_load_dwordx2 v[16:17], v[10:11], off
	v_mad_u64_u32 v[10:11], s[4:5], v2, s29, v[3:4]
	v_mov_b32_e32 v2, s15
	s_lshl_b32 s4, s28, 2
	v_ashrrev_i32_e32 v11, 31, v10
	v_lshlrev_b64 v[10:11], 3, v[10:11]
	v_mov_b32_e32 v21, s15
	v_add_co_u32_e32 v13, vcc, s14, v10
	v_addc_co_u32_e32 v14, vcc, v2, v11, vcc
	v_subrev_u32_e32 v2, s4, v12
	v_add_u32_e32 v12, v2, v0
	global_load_dwordx2 v[14:15], v[13:14], off
	v_mad_u64_u32 v[12:13], s[4:5], v12, s29, v[3:4]
	s_mov_b32 s39, 0x3fe99999
	s_mov_b32 s38, s36
	v_ashrrev_i32_e32 v13, 31, v12
	v_lshlrev_b64 v[12:13], 3, v[12:13]
	s_brev_b32 s34, 6
	v_add_co_u32_e32 v20, vcc, s14, v12
	v_addc_co_u32_e32 v21, vcc, v21, v13, vcc
	global_load_dwordx2 v[20:21], v[20:21], off
	s_mov_b32 s35, 0x3fa374bc
	v_mov_b32_e32 v44, s27
	v_mov_b32_e32 v46, s27
	;; [unrolled: 1-line block ×8, first 2 shown]
	s_waitcnt vmcnt(2)
	v_add_f64 v[18:19], v[8:9], -v[16:17]
	s_waitcnt vmcnt(0)
	v_add_f64 v[22:23], v[14:15], -v[20:21]
	v_mul_f64 v[22:23], v[22:23], s[36:37]
	v_fma_f64 v[26:27], v[18:19], s[38:39], -v[22:23]
	v_mad_u64_u32 v[22:23], s[4:5], s28, 5, v[2:3]
	v_add_u32_e32 v2, v22, v0
	v_mad_u64_u32 v[18:19], s[4:5], v2, s29, v[3:4]
	v_mov_b32_e32 v2, s15
	v_ashrrev_i32_e32 v19, 31, v18
	v_lshlrev_b64 v[18:19], 3, v[18:19]
	v_add_co_u32_e32 v23, vcc, s14, v18
	v_mad_u64_u32 v[28:29], s[4:5], s28, -6, v[22:23]
	v_addc_co_u32_e32 v24, vcc, v2, v19, vcc
	v_add_u32_e32 v2, v28, v0
	global_load_dwordx2 v[24:25], v[23:24], off
	v_mad_u64_u32 v[22:23], s[4:5], v2, s29, v[3:4]
	v_mov_b32_e32 v2, s15
	v_ashrrev_i32_e32 v23, 31, v22
	v_lshlrev_b64 v[22:23], 3, v[22:23]
	v_add_co_u32_e32 v29, vcc, s14, v22
	v_addc_co_u32_e32 v30, vcc, v2, v23, vcc
	global_load_dwordx2 v[30:31], v[29:30], off
	v_mad_u64_u32 v[28:29], s[4:5], s28, 7, v[28:29]
	v_add_u32_e32 v2, v28, v0
	s_waitcnt vmcnt(0)
	v_add_f64 v[32:33], v[24:25], -v[30:31]
	v_fma_f64 v[36:37], v[32:33], s[34:35], v[26:27]
	v_mad_u64_u32 v[26:27], s[4:5], v2, s29, v[3:4]
	v_mov_b32_e32 v2, s15
	s_lshl_b32 s4, s28, 3
	v_ashrrev_i32_e32 v27, 31, v26
	v_lshlrev_b64 v[26:27], 3, v[26:27]
	v_add_co_u32_e32 v32, vcc, s14, v26
	v_addc_co_u32_e32 v33, vcc, v2, v27, vcc
	v_subrev_u32_e32 v2, s4, v28
	v_add_u32_e32 v2, v2, v0
	v_mad_u64_u32 v[28:29], s[4:5], v2, s29, v[3:4]
	v_mov_b32_e32 v2, s15
	global_load_dwordx2 v[32:33], v[32:33], off
	v_ashrrev_i32_e32 v29, 31, v28
	v_lshlrev_b64 v[28:29], 3, v[28:29]
	s_mov_b32 s4, 2.0
	v_add_co_u32_e32 v34, vcc, s14, v28
	v_addc_co_u32_e32 v35, vcc, v2, v29, vcc
	global_load_dwordx2 v[34:35], v[34:35], off
	s_mov_b32 s5, 0xbf6cac08
	v_add_u32_e32 v2, v1, v0
	s_waitcnt vmcnt(0)
	v_add_f64 v[38:39], v[32:33], -v[34:35]
	v_fma_f64 v[38:39], v[38:39], s[4:5], v[36:37]
	v_mad_u64_u32 v[36:37], s[14:15], v2, s29, v[3:4]
	v_ashrrev_i32_e32 v37, 31, v36
	v_lshlrev_b64 v[0:1], 3, v[36:37]
	v_mov_b32_e32 v37, s17
	v_add_co_u32_e32 v40, vcc, s16, v0
	v_addc_co_u32_e32 v41, vcc, v37, v1, vcc
	global_load_dwordx2 v[42:43], v[40:41], off
	s_waitcnt vmcnt(0)
	v_fma_f64 v[37:38], -s[2:3], v[38:39], v[42:43]
	v_mov_b32_e32 v42, s11
	global_store_dwordx2 v[40:41], v[37:38], off
	v_add_co_u32_e32 v37, vcc, s10, v4
	v_mov_b32_e32 v38, s11
	v_addc_co_u32_e32 v38, vcc, v38, v5, vcc
	v_add_co_u32_e32 v39, vcc, s26, v4
	v_mov_b32_e32 v40, s27
	v_addc_co_u32_e32 v40, vcc, v40, v5, vcc
	v_add_co_u32_e32 v41, vcc, s10, v6
	v_addc_co_u32_e32 v42, vcc, v42, v7, vcc
	v_add_co_u32_e32 v43, vcc, s26, v6
	v_addc_co_u32_e32 v44, vcc, v44, v7, vcc
	global_load_dwordx2 v[41:42], v[41:42], off
	s_nop 0
	global_load_dwordx2 v[43:44], v[43:44], off
	s_waitcnt vmcnt(0)
	v_mul_f64 v[41:42], v[41:42], v[43:44]
	global_load_dwordx2 v[37:38], v[37:38], off
	v_mul_f64 v[16:17], v[16:17], v[43:44]
	global_load_dwordx2 v[39:40], v[39:40], off
	s_waitcnt vmcnt(0)
	v_fma_f64 v[37:38], v[37:38], v[39:40], -v[41:42]
	v_add_co_u32_e32 v41, vcc, s10, v10
	v_mov_b32_e32 v42, s11
	v_addc_co_u32_e32 v42, vcc, v42, v11, vcc
	v_add_co_u32_e32 v45, vcc, s26, v10
	v_addc_co_u32_e32 v46, vcc, v46, v11, vcc
	v_add_co_u32_e32 v47, vcc, s10, v12
	;; [unrolled: 2-line block ×3, first 2 shown]
	v_addc_co_u32_e32 v50, vcc, v50, v13, vcc
	global_load_dwordx2 v[47:48], v[47:48], off
	v_fma_f64 v[8:9], v[8:9], v[39:40], -v[16:17]
	global_load_dwordx2 v[49:50], v[49:50], off
	v_mov_b32_e32 v16, s7
	global_load_dwordx2 v[41:42], v[41:42], off
	v_mov_b32_e32 v17, s25
	global_load_dwordx2 v[45:46], v[45:46], off
	s_waitcnt vmcnt(2)
	v_mul_f64 v[47:48], v[47:48], v[49:50]
	s_waitcnt vmcnt(0)
	v_fma_f64 v[41:42], v[41:42], v[45:46], -v[47:48]
	v_mov_b32_e32 v48, s27
	v_mul_f64 v[41:42], v[41:42], s[36:37]
	v_fma_f64 v[37:38], v[37:38], s[38:39], -v[41:42]
	v_add_co_u32_e32 v41, vcc, s10, v18
	v_mov_b32_e32 v42, s11
	v_addc_co_u32_e32 v42, vcc, v42, v19, vcc
	v_add_co_u32_e32 v47, vcc, s26, v18
	v_addc_co_u32_e32 v48, vcc, v48, v19, vcc
	v_add_co_u32_e32 v51, vcc, s10, v22
	;; [unrolled: 2-line block ×3, first 2 shown]
	v_addc_co_u32_e32 v54, vcc, v54, v23, vcc
	global_load_dwordx2 v[51:52], v[51:52], off
	s_nop 0
	global_load_dwordx2 v[53:54], v[53:54], off
	s_waitcnt vmcnt(0)
	v_mul_f64 v[51:52], v[51:52], v[53:54]
	global_load_dwordx2 v[41:42], v[41:42], off
	s_nop 0
	global_load_dwordx2 v[47:48], v[47:48], off
	s_waitcnt vmcnt(0)
	v_fma_f64 v[41:42], v[41:42], v[47:48], -v[51:52]
	v_mov_b32_e32 v52, s27
	v_fma_f64 v[37:38], v[41:42], s[34:35], v[37:38]
	v_add_co_u32_e32 v41, vcc, s10, v26
	v_mov_b32_e32 v42, s11
	v_addc_co_u32_e32 v42, vcc, v42, v27, vcc
	v_add_co_u32_e32 v51, vcc, s26, v26
	v_addc_co_u32_e32 v52, vcc, v52, v27, vcc
	v_add_co_u32_e32 v55, vcc, s10, v28
	;; [unrolled: 2-line block ×3, first 2 shown]
	v_addc_co_u32_e32 v58, vcc, v58, v29, vcc
	global_load_dwordx2 v[55:56], v[55:56], off
	s_nop 0
	global_load_dwordx2 v[57:58], v[57:58], off
	s_waitcnt vmcnt(0)
	v_mul_f64 v[55:56], v[55:56], v[57:58]
	global_load_dwordx2 v[41:42], v[41:42], off
	s_nop 0
	global_load_dwordx2 v[51:52], v[51:52], off
	s_waitcnt vmcnt(0)
	v_fma_f64 v[41:42], v[41:42], v[51:52], -v[55:56]
	v_fma_f64 v[37:38], v[41:42], s[4:5], v[37:38]
	v_add_co_u32_e32 v41, vcc, s18, v0
	v_mov_b32_e32 v42, s19
	v_addc_co_u32_e32 v42, vcc, v42, v1, vcc
	global_load_dwordx2 v[55:56], v[41:42], off
	s_waitcnt vmcnt(0)
	v_fma_f64 v[37:38], -s[2:3], v[37:38], v[55:56]
	v_mov_b32_e32 v56, s13
	global_store_dwordx2 v[41:42], v[37:38], off
	v_add_co_u32_e32 v37, vcc, s12, v4
	v_mov_b32_e32 v38, s13
	v_addc_co_u32_e32 v38, vcc, v38, v5, vcc
	v_add_co_u32_e32 v41, vcc, s12, v6
	v_mov_b32_e32 v42, s13
	v_addc_co_u32_e32 v42, vcc, v42, v7, vcc
	global_load_dwordx2 v[37:38], v[37:38], off
	s_nop 0
	global_load_dwordx2 v[41:42], v[41:42], off
	s_waitcnt vmcnt(0)
	v_mul_f64 v[41:42], v[43:44], v[41:42]
	v_fma_f64 v[37:38], v[39:40], v[37:38], -v[41:42]
	v_add_co_u32_e32 v41, vcc, s12, v10
	v_mov_b32_e32 v42, s13
	v_addc_co_u32_e32 v42, vcc, v42, v11, vcc
	v_add_co_u32_e32 v55, vcc, s12, v12
	v_addc_co_u32_e32 v56, vcc, v56, v13, vcc
	global_load_dwordx2 v[41:42], v[41:42], off
	s_nop 0
	global_load_dwordx2 v[55:56], v[55:56], off
	s_waitcnt vmcnt(0)
	v_mul_f64 v[55:56], v[49:50], v[55:56]
	v_fma_f64 v[41:42], v[45:46], v[41:42], -v[55:56]
	v_mov_b32_e32 v56, s13
	v_mul_f64 v[41:42], v[41:42], s[36:37]
	v_fma_f64 v[37:38], v[37:38], s[38:39], -v[41:42]
	v_add_co_u32_e32 v41, vcc, s12, v18
	v_mov_b32_e32 v42, s13
	v_addc_co_u32_e32 v42, vcc, v42, v19, vcc
	v_add_co_u32_e32 v55, vcc, s12, v22
	v_addc_co_u32_e32 v56, vcc, v56, v23, vcc
	global_load_dwordx2 v[41:42], v[41:42], off
	s_nop 0
	global_load_dwordx2 v[55:56], v[55:56], off
	s_waitcnt vmcnt(0)
	v_mul_f64 v[55:56], v[53:54], v[55:56]
	v_fma_f64 v[41:42], v[47:48], v[41:42], -v[55:56]
	v_mov_b32_e32 v56, s13
	v_fma_f64 v[37:38], v[41:42], s[34:35], v[37:38]
	v_add_co_u32_e32 v41, vcc, s12, v26
	v_mov_b32_e32 v42, s13
	v_addc_co_u32_e32 v42, vcc, v42, v27, vcc
	v_add_co_u32_e32 v55, vcc, s12, v28
	v_addc_co_u32_e32 v56, vcc, v56, v29, vcc
	global_load_dwordx2 v[41:42], v[41:42], off
	s_nop 0
	global_load_dwordx2 v[55:56], v[55:56], off
	s_waitcnt vmcnt(0)
	v_mul_f64 v[55:56], v[57:58], v[55:56]
	v_fma_f64 v[41:42], v[51:52], v[41:42], -v[55:56]
	v_fma_f64 v[37:38], v[41:42], s[4:5], v[37:38]
	v_add_co_u32_e32 v41, vcc, s20, v0
	v_mov_b32_e32 v42, s21
	v_addc_co_u32_e32 v42, vcc, v42, v1, vcc
	v_add_co_u32_e32 v4, vcc, s6, v4
	v_addc_co_u32_e32 v5, vcc, v16, v5, vcc
	v_add_co_u32_e32 v6, vcc, s6, v6
	v_addc_co_u32_e32 v7, vcc, v16, v7, vcc
	global_load_dwordx2 v[4:5], v[4:5], off
	s_nop 0
	global_load_dwordx2 v[6:7], v[6:7], off
	s_waitcnt vmcnt(0)
	v_add_f64 v[4:5], v[4:5], -v[6:7]
	v_mul_f64 v[6:7], v[20:21], v[49:50]
	global_load_dwordx2 v[55:56], v[41:42], off
	v_add_f64 v[4:5], v[8:9], v[4:5]
	v_add_co_u32_e32 v8, vcc, s6, v10
	v_mov_b32_e32 v9, s7
	v_addc_co_u32_e32 v9, vcc, v9, v11, vcc
	v_add_co_u32_e32 v10, vcc, s6, v12
	v_mov_b32_e32 v11, s7
	v_addc_co_u32_e32 v11, vcc, v11, v13, vcc
	global_load_dwordx2 v[8:9], v[8:9], off
	v_fma_f64 v[6:7], v[14:15], v[45:46], -v[6:7]
	global_load_dwordx2 v[10:11], v[10:11], off
	v_mov_b32_e32 v13, s31
	v_mov_b32_e32 v15, s25
	s_waitcnt vmcnt(2)
	v_fma_f64 v[37:38], -s[2:3], v[37:38], v[55:56]
	global_store_dwordx2 v[41:42], v[37:38], off
	s_waitcnt vmcnt(1)
	v_add_f64 v[8:9], v[8:9], -v[10:11]
	v_mov_b32_e32 v11, s7
	v_add_f64 v[6:7], v[6:7], v[8:9]
	v_add_co_u32_e32 v8, vcc, s6, v18
	v_mov_b32_e32 v9, s7
	v_addc_co_u32_e32 v9, vcc, v9, v19, vcc
	v_add_co_u32_e32 v10, vcc, s6, v22
	v_addc_co_u32_e32 v11, vcc, v11, v23, vcc
	global_load_dwordx2 v[8:9], v[8:9], off
	v_mul_f64 v[6:7], v[6:7], s[36:37]
	global_load_dwordx2 v[10:11], v[10:11], off
	v_fma_f64 v[4:5], v[4:5], s[38:39], -v[6:7]
	v_mul_f64 v[6:7], v[30:31], v[53:54]
	v_fma_f64 v[6:7], v[24:25], v[47:48], -v[6:7]
	s_waitcnt vmcnt(0)
	v_add_f64 v[8:9], v[8:9], -v[10:11]
	v_mov_b32_e32 v11, s7
	v_add_f64 v[6:7], v[6:7], v[8:9]
	v_add_co_u32_e32 v8, vcc, s6, v26
	v_mov_b32_e32 v9, s7
	v_addc_co_u32_e32 v9, vcc, v9, v27, vcc
	v_add_co_u32_e32 v10, vcc, s6, v28
	v_addc_co_u32_e32 v11, vcc, v11, v29, vcc
	global_load_dwordx2 v[8:9], v[8:9], off
	v_fma_f64 v[4:5], v[6:7], s[34:35], v[4:5]
	global_load_dwordx2 v[10:11], v[10:11], off
	v_mul_f64 v[6:7], v[34:35], v[57:58]
	v_fma_f64 v[6:7], v[32:33], v[51:52], -v[6:7]
	s_waitcnt vmcnt(0)
	v_add_f64 v[8:9], v[8:9], -v[10:11]
	v_add_u32_e32 v10, -1, v2
	v_add_f64 v[6:7], v[6:7], v[8:9]
	v_fma_f64 v[4:5], v[6:7], s[4:5], v[4:5]
	v_add_co_u32_e32 v6, vcc, s22, v0
	v_mov_b32_e32 v7, s23
	v_addc_co_u32_e32 v7, vcc, v7, v1, vcc
	global_load_dwordx2 v[8:9], v[6:7], off
	s_waitcnt vmcnt(0)
	v_fma_f64 v[4:5], -s[2:3], v[4:5], v[8:9]
	v_mov_b32_e32 v9, s25
	global_store_dwordx2 v[6:7], v[4:5], off
	v_add_u32_e32 v4, s29, v36
	v_ashrrev_i32_e32 v5, 31, v4
	v_lshlrev_b64 v[4:5], 3, v[4:5]
	v_mov_b32_e32 v7, s31
	v_mad_u64_u32 v[10:11], s[2:3], v10, s29, v[3:4]
	v_add_co_u32_e32 v6, vcc, s30, v4
	v_addc_co_u32_e32 v7, vcc, v7, v5, vcc
	v_ashrrev_i32_e32 v11, 31, v10
	v_add_co_u32_e32 v8, vcc, s24, v4
	v_lshlrev_b64 v[10:11], 3, v[10:11]
	v_addc_co_u32_e32 v9, vcc, v9, v5, vcc
	v_add_co_u32_e32 v12, vcc, s30, v10
	v_addc_co_u32_e32 v13, vcc, v13, v11, vcc
	v_add_co_u32_e32 v14, vcc, s24, v10
	v_addc_co_u32_e32 v15, vcc, v15, v11, vcc
	global_load_dwordx2 v[12:13], v[12:13], off
	v_add_co_u32_e32 v4, vcc, s6, v4
	global_load_dwordx2 v[14:15], v[14:15], off
	s_waitcnt vmcnt(0)
	v_mul_f64 v[12:13], v[12:13], v[14:15]
	global_load_dwordx2 v[6:7], v[6:7], off
	s_nop 0
	global_load_dwordx2 v[8:9], v[8:9], off
	s_waitcnt vmcnt(0)
	v_fma_f64 v[6:7], v[6:7], v[8:9], -v[12:13]
	v_mov_b32_e32 v12, s7
	v_addc_co_u32_e32 v5, vcc, v12, v5, vcc
	v_add_co_u32_e32 v10, vcc, s6, v10
	v_addc_co_u32_e32 v11, vcc, v12, v11, vcc
	global_load_dwordx2 v[4:5], v[4:5], off
	v_add_u32_e32 v12, -2, v2
	global_load_dwordx2 v[10:11], v[10:11], off
	s_waitcnt vmcnt(0)
	v_mul_f64 v[10:11], v[14:15], v[10:11]
	v_mov_b32_e32 v15, s31
	v_fma_f64 v[4:5], v[8:9], v[4:5], -v[10:11]
	v_mov_b32_e32 v9, s31
	v_mov_b32_e32 v11, s25
	v_add_f64 v[4:5], v[6:7], v[4:5]
	v_add_u32_e32 v6, 2, v2
	v_mad_u64_u32 v[6:7], s[2:3], v6, s29, v[3:4]
	v_mad_u64_u32 v[12:13], s[2:3], v12, s29, v[3:4]
	v_ashrrev_i32_e32 v7, 31, v6
	v_lshlrev_b64 v[6:7], 3, v[6:7]
	v_ashrrev_i32_e32 v13, 31, v12
	v_add_co_u32_e32 v8, vcc, s30, v6
	v_addc_co_u32_e32 v9, vcc, v9, v7, vcc
	v_add_co_u32_e32 v10, vcc, s24, v6
	v_lshlrev_b64 v[12:13], 3, v[12:13]
	v_addc_co_u32_e32 v11, vcc, v11, v7, vcc
	v_add_co_u32_e32 v14, vcc, s30, v12
	v_addc_co_u32_e32 v15, vcc, v15, v13, vcc
	v_add_co_u32_e32 v16, vcc, s24, v12
	v_addc_co_u32_e32 v17, vcc, v17, v13, vcc
	global_load_dwordx2 v[14:15], v[14:15], off
	v_add_co_u32_e32 v6, vcc, s6, v6
	global_load_dwordx2 v[16:17], v[16:17], off
	s_waitcnt vmcnt(0)
	v_mul_f64 v[14:15], v[14:15], v[16:17]
	global_load_dwordx2 v[8:9], v[8:9], off
	s_nop 0
	global_load_dwordx2 v[10:11], v[10:11], off
	s_waitcnt vmcnt(0)
	v_fma_f64 v[8:9], v[8:9], v[10:11], -v[14:15]
	v_mov_b32_e32 v14, s7
	v_addc_co_u32_e32 v7, vcc, v14, v7, vcc
	v_add_co_u32_e32 v12, vcc, s6, v12
	v_addc_co_u32_e32 v13, vcc, v14, v13, vcc
	global_load_dwordx2 v[6:7], v[6:7], off
	v_mov_b32_e32 v15, s31
	global_load_dwordx2 v[12:13], v[12:13], off
	s_waitcnt vmcnt(0)
	v_mul_f64 v[12:13], v[16:17], v[12:13]
	v_mov_b32_e32 v17, s25
	v_fma_f64 v[6:7], v[10:11], v[6:7], -v[12:13]
	v_add_u32_e32 v12, -3, v2
	v_mov_b32_e32 v11, s25
	v_add_f64 v[6:7], v[8:9], v[6:7]
	v_mov_b32_e32 v9, s31
	v_mul_f64 v[6:7], v[6:7], s[36:37]
	v_fma_f64 v[4:5], v[4:5], s[38:39], -v[6:7]
	v_add_u32_e32 v6, 3, v2
	v_mad_u64_u32 v[6:7], s[2:3], v6, s29, v[3:4]
	v_mad_u64_u32 v[12:13], s[2:3], v12, s29, v[3:4]
	v_ashrrev_i32_e32 v7, 31, v6
	v_lshlrev_b64 v[6:7], 3, v[6:7]
	v_ashrrev_i32_e32 v13, 31, v12
	v_add_co_u32_e32 v8, vcc, s30, v6
	v_addc_co_u32_e32 v9, vcc, v9, v7, vcc
	v_add_co_u32_e32 v10, vcc, s24, v6
	v_lshlrev_b64 v[12:13], 3, v[12:13]
	v_addc_co_u32_e32 v11, vcc, v11, v7, vcc
	v_add_co_u32_e32 v14, vcc, s30, v12
	v_addc_co_u32_e32 v15, vcc, v15, v13, vcc
	v_add_co_u32_e32 v16, vcc, s24, v12
	v_addc_co_u32_e32 v17, vcc, v17, v13, vcc
	global_load_dwordx2 v[14:15], v[14:15], off
	v_add_co_u32_e32 v6, vcc, s6, v6
	global_load_dwordx2 v[16:17], v[16:17], off
	s_waitcnt vmcnt(0)
	v_mul_f64 v[14:15], v[14:15], v[16:17]
	global_load_dwordx2 v[8:9], v[8:9], off
	s_nop 0
	global_load_dwordx2 v[10:11], v[10:11], off
	s_waitcnt vmcnt(0)
	v_fma_f64 v[8:9], v[8:9], v[10:11], -v[14:15]
	v_mov_b32_e32 v14, s7
	v_addc_co_u32_e32 v7, vcc, v14, v7, vcc
	v_add_co_u32_e32 v12, vcc, s6, v12
	v_addc_co_u32_e32 v13, vcc, v14, v13, vcc
	global_load_dwordx2 v[6:7], v[6:7], off
	s_nop 0
	global_load_dwordx2 v[12:13], v[12:13], off
	s_waitcnt vmcnt(0)
	v_mul_f64 v[12:13], v[16:17], v[12:13]
	v_fma_f64 v[6:7], v[10:11], v[6:7], -v[12:13]
	v_add_f64 v[6:7], v[8:9], v[6:7]
	v_mov_b32_e32 v9, s25
	v_fma_f64 v[4:5], v[6:7], s[34:35], v[4:5]
	v_add_u32_e32 v6, 4, v2
	v_add_u32_e32 v2, -4, v2
	v_mad_u64_u32 v[6:7], s[2:3], v6, s29, v[3:4]
	v_mad_u64_u32 v[2:3], s[2:3], v2, s29, v[3:4]
	v_ashrrev_i32_e32 v7, 31, v6
	v_lshlrev_b64 v[10:11], 3, v[6:7]
	v_mov_b32_e32 v7, s31
	v_add_co_u32_e32 v6, vcc, s30, v10
	v_addc_co_u32_e32 v7, vcc, v7, v11, vcc
	v_ashrrev_i32_e32 v3, 31, v2
	global_load_dwordx2 v[12:13], v[6:7], off
	v_add_co_u32_e32 v6, vcc, s24, v10
	v_mov_b32_e32 v7, s25
	v_lshlrev_b64 v[14:15], 3, v[2:3]
	v_addc_co_u32_e32 v7, vcc, v7, v11, vcc
	v_add_co_u32_e32 v2, vcc, s30, v14
	v_mov_b32_e32 v3, s31
	v_addc_co_u32_e32 v3, vcc, v3, v15, vcc
	v_add_co_u32_e32 v8, vcc, s24, v14
	v_addc_co_u32_e32 v9, vcc, v9, v15, vcc
	global_load_dwordx2 v[6:7], v[6:7], off
	v_add_co_u32_e32 v10, vcc, s6, v10
	global_load_dwordx2 v[2:3], v[2:3], off
	s_nop 0
	global_load_dwordx2 v[8:9], v[8:9], off
	s_waitcnt vmcnt(0)
	v_mul_f64 v[2:3], v[2:3], v[8:9]
	v_fma_f64 v[2:3], v[12:13], v[6:7], -v[2:3]
	v_mov_b32_e32 v12, s7
	v_addc_co_u32_e32 v11, vcc, v12, v11, vcc
	v_add_co_u32_e32 v12, vcc, s6, v14
	v_mov_b32_e32 v13, s7
	v_addc_co_u32_e32 v13, vcc, v13, v15, vcc
	global_load_dwordx2 v[10:11], v[10:11], off
	v_add_co_u32_e32 v0, vcc, s8, v0
	global_load_dwordx2 v[12:13], v[12:13], off
	s_waitcnt vmcnt(0)
	v_mul_f64 v[8:9], v[8:9], v[12:13]
	v_fma_f64 v[6:7], v[6:7], v[10:11], -v[8:9]
	v_add_f64 v[2:3], v[2:3], v[6:7]
	v_fma_f64 v[2:3], v[2:3], s[4:5], v[4:5]
	v_mov_b32_e32 v4, s9
	v_addc_co_u32_e32 v1, vcc, v4, v1, vcc
	global_load_dwordx2 v[4:5], v[0:1], off
	s_waitcnt vmcnt(0)
	v_fma_f64 v[2:3], -s[0:1], v[2:3], v[4:5]
	global_store_dwordx2 v[0:1], v[2:3], off
.LBB2_2:
	s_endpgm
	.section	.rodata,"a",@progbits
	.p2align	6, 0x0
	.amdhsa_kernel _Z9hypterm_3PdS_S_S_S_PKdS1_S1_S1_S1_S1_S1_S1_dddiii
		.amdhsa_group_segment_fixed_size 0
		.amdhsa_private_segment_fixed_size 0
		.amdhsa_kernarg_size 400
		.amdhsa_user_sgpr_count 6
		.amdhsa_user_sgpr_private_segment_buffer 1
		.amdhsa_user_sgpr_dispatch_ptr 0
		.amdhsa_user_sgpr_queue_ptr 0
		.amdhsa_user_sgpr_kernarg_segment_ptr 1
		.amdhsa_user_sgpr_dispatch_id 0
		.amdhsa_user_sgpr_flat_scratch_init 0
		.amdhsa_user_sgpr_private_segment_size 0
		.amdhsa_uses_dynamic_stack 0
		.amdhsa_system_sgpr_private_segment_wavefront_offset 0
		.amdhsa_system_sgpr_workgroup_id_x 1
		.amdhsa_system_sgpr_workgroup_id_y 1
		.amdhsa_system_sgpr_workgroup_id_z 1
		.amdhsa_system_sgpr_workgroup_info 0
		.amdhsa_system_vgpr_workitem_id 2
		.amdhsa_next_free_vgpr 59
		.amdhsa_next_free_sgpr 40
		.amdhsa_reserve_vcc 1
		.amdhsa_reserve_flat_scratch 0
		.amdhsa_float_round_mode_32 0
		.amdhsa_float_round_mode_16_64 0
		.amdhsa_float_denorm_mode_32 3
		.amdhsa_float_denorm_mode_16_64 3
		.amdhsa_dx10_clamp 1
		.amdhsa_ieee_mode 1
		.amdhsa_fp16_overflow 0
		.amdhsa_exception_fp_ieee_invalid_op 0
		.amdhsa_exception_fp_denorm_src 0
		.amdhsa_exception_fp_ieee_div_zero 0
		.amdhsa_exception_fp_ieee_overflow 0
		.amdhsa_exception_fp_ieee_underflow 0
		.amdhsa_exception_fp_ieee_inexact 0
		.amdhsa_exception_int_div_zero 0
	.end_amdhsa_kernel
	.text
.Lfunc_end2:
	.size	_Z9hypterm_3PdS_S_S_S_PKdS1_S1_S1_S1_S1_S1_S1_dddiii, .Lfunc_end2-_Z9hypterm_3PdS_S_S_S_PKdS1_S1_S1_S1_S1_S1_S1_dddiii
                                        ; -- End function
	.set _Z9hypterm_3PdS_S_S_S_PKdS1_S1_S1_S1_S1_S1_S1_dddiii.num_vgpr, 59
	.set _Z9hypterm_3PdS_S_S_S_PKdS1_S1_S1_S1_S1_S1_S1_dddiii.num_agpr, 0
	.set _Z9hypterm_3PdS_S_S_S_PKdS1_S1_S1_S1_S1_S1_S1_dddiii.numbered_sgpr, 40
	.set _Z9hypterm_3PdS_S_S_S_PKdS1_S1_S1_S1_S1_S1_S1_dddiii.num_named_barrier, 0
	.set _Z9hypterm_3PdS_S_S_S_PKdS1_S1_S1_S1_S1_S1_S1_dddiii.private_seg_size, 0
	.set _Z9hypterm_3PdS_S_S_S_PKdS1_S1_S1_S1_S1_S1_S1_dddiii.uses_vcc, 1
	.set _Z9hypterm_3PdS_S_S_S_PKdS1_S1_S1_S1_S1_S1_S1_dddiii.uses_flat_scratch, 0
	.set _Z9hypterm_3PdS_S_S_S_PKdS1_S1_S1_S1_S1_S1_S1_dddiii.has_dyn_sized_stack, 0
	.set _Z9hypterm_3PdS_S_S_S_PKdS1_S1_S1_S1_S1_S1_S1_dddiii.has_recursion, 0
	.set _Z9hypterm_3PdS_S_S_S_PKdS1_S1_S1_S1_S1_S1_S1_dddiii.has_indirect_call, 0
	.section	.AMDGPU.csdata,"",@progbits
; Kernel info:
; codeLenInByte = 2948
; TotalNumSgprs: 44
; NumVgprs: 59
; ScratchSize: 0
; MemoryBound: 0
; FloatMode: 240
; IeeeMode: 1
; LDSByteSize: 0 bytes/workgroup (compile time only)
; SGPRBlocks: 5
; VGPRBlocks: 14
; NumSGPRsForWavesPerEU: 44
; NumVGPRsForWavesPerEU: 59
; Occupancy: 4
; WaveLimiterHint : 0
; COMPUTE_PGM_RSRC2:SCRATCH_EN: 0
; COMPUTE_PGM_RSRC2:USER_SGPR: 6
; COMPUTE_PGM_RSRC2:TRAP_HANDLER: 0
; COMPUTE_PGM_RSRC2:TGID_X_EN: 1
; COMPUTE_PGM_RSRC2:TGID_Y_EN: 1
; COMPUTE_PGM_RSRC2:TGID_Z_EN: 1
; COMPUTE_PGM_RSRC2:TIDIG_COMP_CNT: 2
	.section	.AMDGPU.gpr_maximums,"",@progbits
	.set amdgpu.max_num_vgpr, 0
	.set amdgpu.max_num_agpr, 0
	.set amdgpu.max_num_sgpr, 0
	.section	.AMDGPU.csdata,"",@progbits
	.type	__hip_cuid_bb65b281183b3a74,@object ; @__hip_cuid_bb65b281183b3a74
	.section	.bss,"aw",@nobits
	.globl	__hip_cuid_bb65b281183b3a74
__hip_cuid_bb65b281183b3a74:
	.byte	0                               ; 0x0
	.size	__hip_cuid_bb65b281183b3a74, 1

	.ident	"AMD clang version 22.0.0git (https://github.com/RadeonOpenCompute/llvm-project roc-7.2.4 26084 f58b06dce1f9c15707c5f808fd002e18c2accf7e)"
	.section	".note.GNU-stack","",@progbits
	.addrsig
	.addrsig_sym __hip_cuid_bb65b281183b3a74
	.amdgpu_metadata
---
amdhsa.kernels:
  - .args:
      - .actual_access:  write_only
        .address_space:  global
        .offset:         0
        .size:           8
        .value_kind:     global_buffer
      - .actual_access:  write_only
        .address_space:  global
        .offset:         8
        .size:           8
        .value_kind:     global_buffer
      - .actual_access:  write_only
        .address_space:  global
        .offset:         16
        .size:           8
        .value_kind:     global_buffer
      - .actual_access:  write_only
        .address_space:  global
        .offset:         24
        .size:           8
        .value_kind:     global_buffer
      - .actual_access:  write_only
        .address_space:  global
        .offset:         32
        .size:           8
        .value_kind:     global_buffer
      - .actual_access:  read_only
        .address_space:  global
        .offset:         40
        .size:           8
        .value_kind:     global_buffer
      - .actual_access:  read_only
        .address_space:  global
        .offset:         48
        .size:           8
        .value_kind:     global_buffer
      - .actual_access:  read_only
        .address_space:  global
        .offset:         56
        .size:           8
        .value_kind:     global_buffer
      - .actual_access:  read_only
        .address_space:  global
        .offset:         64
        .size:           8
        .value_kind:     global_buffer
      - .actual_access:  read_only
        .address_space:  global
        .offset:         72
        .size:           8
        .value_kind:     global_buffer
      - .actual_access:  read_only
        .address_space:  global
        .offset:         80
        .size:           8
        .value_kind:     global_buffer
      - .actual_access:  read_only
        .address_space:  global
        .offset:         88
        .size:           8
        .value_kind:     global_buffer
      - .actual_access:  read_only
        .address_space:  global
        .offset:         96
        .size:           8
        .value_kind:     global_buffer
      - .offset:         104
        .size:           8
        .value_kind:     by_value
      - .offset:         112
        .size:           8
        .value_kind:     by_value
      - .offset:         120
        .size:           8
        .value_kind:     by_value
      - .offset:         128
        .size:           4
        .value_kind:     by_value
      - .offset:         132
        .size:           4
        .value_kind:     by_value
      - .offset:         136
        .size:           4
        .value_kind:     by_value
      - .offset:         144
        .size:           4
        .value_kind:     hidden_block_count_x
      - .offset:         148
        .size:           4
        .value_kind:     hidden_block_count_y
      - .offset:         152
        .size:           4
        .value_kind:     hidden_block_count_z
      - .offset:         156
        .size:           2
        .value_kind:     hidden_group_size_x
      - .offset:         158
        .size:           2
        .value_kind:     hidden_group_size_y
      - .offset:         160
        .size:           2
        .value_kind:     hidden_group_size_z
      - .offset:         162
        .size:           2
        .value_kind:     hidden_remainder_x
      - .offset:         164
        .size:           2
        .value_kind:     hidden_remainder_y
      - .offset:         166
        .size:           2
        .value_kind:     hidden_remainder_z
      - .offset:         184
        .size:           8
        .value_kind:     hidden_global_offset_x
      - .offset:         192
        .size:           8
        .value_kind:     hidden_global_offset_y
      - .offset:         200
        .size:           8
        .value_kind:     hidden_global_offset_z
      - .offset:         208
        .size:           2
        .value_kind:     hidden_grid_dims
    .group_segment_fixed_size: 0
    .kernarg_segment_align: 8
    .kernarg_segment_size: 400
    .language:       OpenCL C
    .language_version:
      - 2
      - 0
    .max_flat_workgroup_size: 1024
    .name:           _Z9hypterm_1PdS_S_S_S_PKdS1_S1_S1_S1_S1_S1_S1_dddiii
    .private_segment_fixed_size: 0
    .sgpr_count:     34
    .sgpr_spill_count: 0
    .symbol:         _Z9hypterm_1PdS_S_S_S_PKdS1_S1_S1_S1_S1_S1_S1_dddiii.kd
    .uniform_work_group_size: 1
    .uses_dynamic_stack: false
    .vgpr_count:     54
    .vgpr_spill_count: 0
    .wavefront_size: 64
  - .args:
      - .address_space:  global
        .offset:         0
        .size:           8
        .value_kind:     global_buffer
      - .address_space:  global
        .offset:         8
        .size:           8
        .value_kind:     global_buffer
      - .address_space:  global
        .offset:         16
        .size:           8
        .value_kind:     global_buffer
      - .address_space:  global
        .offset:         24
        .size:           8
        .value_kind:     global_buffer
      - .address_space:  global
        .offset:         32
        .size:           8
        .value_kind:     global_buffer
      - .actual_access:  read_only
        .address_space:  global
        .offset:         40
        .size:           8
        .value_kind:     global_buffer
      - .actual_access:  read_only
        .address_space:  global
        .offset:         48
        .size:           8
        .value_kind:     global_buffer
      - .actual_access:  read_only
        .address_space:  global
        .offset:         56
        .size:           8
        .value_kind:     global_buffer
      - .actual_access:  read_only
        .address_space:  global
        .offset:         64
        .size:           8
        .value_kind:     global_buffer
      - .actual_access:  read_only
        .address_space:  global
        .offset:         72
        .size:           8
        .value_kind:     global_buffer
      - .actual_access:  read_only
        .address_space:  global
        .offset:         80
        .size:           8
        .value_kind:     global_buffer
      - .actual_access:  read_only
        .address_space:  global
        .offset:         88
        .size:           8
        .value_kind:     global_buffer
      - .actual_access:  read_only
        .address_space:  global
        .offset:         96
        .size:           8
        .value_kind:     global_buffer
      - .offset:         104
        .size:           8
        .value_kind:     by_value
      - .offset:         112
        .size:           8
        .value_kind:     by_value
      - .offset:         120
        .size:           8
        .value_kind:     by_value
      - .offset:         128
        .size:           4
        .value_kind:     by_value
      - .offset:         132
        .size:           4
        .value_kind:     by_value
      - .offset:         136
        .size:           4
        .value_kind:     by_value
      - .offset:         144
        .size:           4
        .value_kind:     hidden_block_count_x
      - .offset:         148
        .size:           4
        .value_kind:     hidden_block_count_y
      - .offset:         152
        .size:           4
        .value_kind:     hidden_block_count_z
      - .offset:         156
        .size:           2
        .value_kind:     hidden_group_size_x
      - .offset:         158
        .size:           2
        .value_kind:     hidden_group_size_y
      - .offset:         160
        .size:           2
        .value_kind:     hidden_group_size_z
      - .offset:         162
        .size:           2
        .value_kind:     hidden_remainder_x
      - .offset:         164
        .size:           2
        .value_kind:     hidden_remainder_y
      - .offset:         166
        .size:           2
        .value_kind:     hidden_remainder_z
      - .offset:         184
        .size:           8
        .value_kind:     hidden_global_offset_x
      - .offset:         192
        .size:           8
        .value_kind:     hidden_global_offset_y
      - .offset:         200
        .size:           8
        .value_kind:     hidden_global_offset_z
      - .offset:         208
        .size:           2
        .value_kind:     hidden_grid_dims
    .group_segment_fixed_size: 0
    .kernarg_segment_align: 8
    .kernarg_segment_size: 400
    .language:       OpenCL C
    .language_version:
      - 2
      - 0
    .max_flat_workgroup_size: 1024
    .name:           _Z9hypterm_2PdS_S_S_S_PKdS1_S1_S1_S1_S1_S1_S1_dddiii
    .private_segment_fixed_size: 0
    .sgpr_count:     44
    .sgpr_spill_count: 0
    .symbol:         _Z9hypterm_2PdS_S_S_S_PKdS1_S1_S1_S1_S1_S1_S1_dddiii.kd
    .uniform_work_group_size: 1
    .uses_dynamic_stack: false
    .vgpr_count:     59
    .vgpr_spill_count: 0
    .wavefront_size: 64
  - .args:
      - .address_space:  global
        .offset:         0
        .size:           8
        .value_kind:     global_buffer
      - .address_space:  global
        .offset:         8
        .size:           8
        .value_kind:     global_buffer
      - .address_space:  global
        .offset:         16
        .size:           8
        .value_kind:     global_buffer
      - .address_space:  global
        .offset:         24
        .size:           8
        .value_kind:     global_buffer
      - .address_space:  global
        .offset:         32
        .size:           8
        .value_kind:     global_buffer
      - .actual_access:  read_only
        .address_space:  global
        .offset:         40
        .size:           8
        .value_kind:     global_buffer
      - .actual_access:  read_only
        .address_space:  global
        .offset:         48
        .size:           8
        .value_kind:     global_buffer
      - .actual_access:  read_only
        .address_space:  global
        .offset:         56
        .size:           8
        .value_kind:     global_buffer
      - .actual_access:  read_only
        .address_space:  global
        .offset:         64
        .size:           8
        .value_kind:     global_buffer
      - .actual_access:  read_only
        .address_space:  global
        .offset:         72
        .size:           8
        .value_kind:     global_buffer
      - .actual_access:  read_only
        .address_space:  global
        .offset:         80
        .size:           8
        .value_kind:     global_buffer
      - .actual_access:  read_only
        .address_space:  global
        .offset:         88
        .size:           8
        .value_kind:     global_buffer
      - .actual_access:  read_only
        .address_space:  global
        .offset:         96
        .size:           8
        .value_kind:     global_buffer
      - .offset:         104
        .size:           8
        .value_kind:     by_value
      - .offset:         112
        .size:           8
        .value_kind:     by_value
      - .offset:         120
        .size:           8
        .value_kind:     by_value
      - .offset:         128
        .size:           4
        .value_kind:     by_value
      - .offset:         132
        .size:           4
        .value_kind:     by_value
      - .offset:         136
        .size:           4
        .value_kind:     by_value
      - .offset:         144
        .size:           4
        .value_kind:     hidden_block_count_x
      - .offset:         148
        .size:           4
        .value_kind:     hidden_block_count_y
      - .offset:         152
        .size:           4
        .value_kind:     hidden_block_count_z
      - .offset:         156
        .size:           2
        .value_kind:     hidden_group_size_x
      - .offset:         158
        .size:           2
        .value_kind:     hidden_group_size_y
      - .offset:         160
        .size:           2
        .value_kind:     hidden_group_size_z
      - .offset:         162
        .size:           2
        .value_kind:     hidden_remainder_x
      - .offset:         164
        .size:           2
        .value_kind:     hidden_remainder_y
      - .offset:         166
        .size:           2
        .value_kind:     hidden_remainder_z
      - .offset:         184
        .size:           8
        .value_kind:     hidden_global_offset_x
      - .offset:         192
        .size:           8
        .value_kind:     hidden_global_offset_y
      - .offset:         200
        .size:           8
        .value_kind:     hidden_global_offset_z
      - .offset:         208
        .size:           2
        .value_kind:     hidden_grid_dims
    .group_segment_fixed_size: 0
    .kernarg_segment_align: 8
    .kernarg_segment_size: 400
    .language:       OpenCL C
    .language_version:
      - 2
      - 0
    .max_flat_workgroup_size: 1024
    .name:           _Z9hypterm_3PdS_S_S_S_PKdS1_S1_S1_S1_S1_S1_S1_dddiii
    .private_segment_fixed_size: 0
    .sgpr_count:     44
    .sgpr_spill_count: 0
    .symbol:         _Z9hypterm_3PdS_S_S_S_PKdS1_S1_S1_S1_S1_S1_S1_dddiii.kd
    .uniform_work_group_size: 1
    .uses_dynamic_stack: false
    .vgpr_count:     59
    .vgpr_spill_count: 0
    .wavefront_size: 64
amdhsa.target:   amdgcn-amd-amdhsa--gfx906
amdhsa.version:
  - 1
  - 2
...

	.end_amdgpu_metadata
